;; amdgpu-corpus repo=ROCm/rocFFT kind=compiled arch=gfx950 opt=O3
	.text
	.amdgcn_target "amdgcn-amd-amdhsa--gfx950"
	.amdhsa_code_object_version 6
	.protected	fft_rtc_fwd_len1632_factors_17_2_2_3_8_wgs_102_tpt_102_halfLds_sp_ip_CI_unitstride_sbrr_C2R_dirReg ; -- Begin function fft_rtc_fwd_len1632_factors_17_2_2_3_8_wgs_102_tpt_102_halfLds_sp_ip_CI_unitstride_sbrr_C2R_dirReg
	.globl	fft_rtc_fwd_len1632_factors_17_2_2_3_8_wgs_102_tpt_102_halfLds_sp_ip_CI_unitstride_sbrr_C2R_dirReg
	.p2align	8
	.type	fft_rtc_fwd_len1632_factors_17_2_2_3_8_wgs_102_tpt_102_halfLds_sp_ip_CI_unitstride_sbrr_C2R_dirReg,@function
fft_rtc_fwd_len1632_factors_17_2_2_3_8_wgs_102_tpt_102_halfLds_sp_ip_CI_unitstride_sbrr_C2R_dirReg: ; @fft_rtc_fwd_len1632_factors_17_2_2_3_8_wgs_102_tpt_102_halfLds_sp_ip_CI_unitstride_sbrr_C2R_dirReg
; %bb.0:
	s_load_dwordx2 s[8:9], s[0:1], 0x50
	s_load_dwordx4 s[4:7], s[0:1], 0x0
	s_load_dwordx2 s[10:11], s[0:1], 0x18
	v_mul_u32_u24_e32 v1, 0x283, v0
	v_add_u32_sdwa v6, s2, v1 dst_sel:DWORD dst_unused:UNUSED_PAD src0_sel:DWORD src1_sel:WORD_1
	v_mov_b32_e32 v4, 0
	s_waitcnt lgkmcnt(0)
	v_cmp_lt_u64_e64 s[2:3], s[6:7], 2
	v_mov_b32_e32 v7, v4
	s_and_b64 vcc, exec, s[2:3]
	v_mov_b64_e32 v[2:3], 0
	s_cbranch_vccnz .LBB0_8
; %bb.1:
	s_load_dwordx2 s[2:3], s[0:1], 0x10
	s_add_u32 s12, s10, 8
	s_addc_u32 s13, s11, 0
	s_mov_b64 s[14:15], 1
	v_mov_b64_e32 v[2:3], 0
	s_waitcnt lgkmcnt(0)
	s_add_u32 s16, s2, 8
	s_addc_u32 s17, s3, 0
.LBB0_2:                                ; =>This Inner Loop Header: Depth=1
	s_load_dwordx2 s[18:19], s[16:17], 0x0
                                        ; implicit-def: $vgpr8_vgpr9
	s_waitcnt lgkmcnt(0)
	v_or_b32_e32 v5, s19, v7
	v_cmp_ne_u64_e32 vcc, 0, v[4:5]
	s_and_saveexec_b64 s[2:3], vcc
	s_xor_b64 s[20:21], exec, s[2:3]
	s_cbranch_execz .LBB0_4
; %bb.3:                                ;   in Loop: Header=BB0_2 Depth=1
	v_cvt_f32_u32_e32 v1, s18
	v_cvt_f32_u32_e32 v5, s19
	s_sub_u32 s2, 0, s18
	s_subb_u32 s3, 0, s19
	v_fmac_f32_e32 v1, 0x4f800000, v5
	v_rcp_f32_e32 v1, v1
	s_nop 0
	v_mul_f32_e32 v1, 0x5f7ffffc, v1
	v_mul_f32_e32 v5, 0x2f800000, v1
	v_trunc_f32_e32 v5, v5
	v_fmac_f32_e32 v1, 0xcf800000, v5
	v_cvt_u32_f32_e32 v5, v5
	v_cvt_u32_f32_e32 v1, v1
	v_mul_lo_u32 v8, s2, v5
	v_mul_hi_u32 v10, s2, v1
	v_mul_lo_u32 v9, s3, v1
	v_add_u32_e32 v10, v10, v8
	v_mul_lo_u32 v12, s2, v1
	v_add_u32_e32 v13, v10, v9
	v_mul_hi_u32 v8, v1, v12
	v_mul_hi_u32 v11, v1, v13
	v_mul_lo_u32 v10, v1, v13
	v_mov_b32_e32 v9, v4
	v_lshl_add_u64 v[8:9], v[8:9], 0, v[10:11]
	v_mul_hi_u32 v11, v5, v12
	v_mul_lo_u32 v12, v5, v12
	v_add_co_u32_e32 v8, vcc, v8, v12
	v_mul_hi_u32 v10, v5, v13
	s_nop 0
	v_addc_co_u32_e32 v8, vcc, v9, v11, vcc
	v_mov_b32_e32 v9, v4
	s_nop 0
	v_addc_co_u32_e32 v11, vcc, 0, v10, vcc
	v_mul_lo_u32 v10, v5, v13
	v_lshl_add_u64 v[8:9], v[8:9], 0, v[10:11]
	v_add_co_u32_e32 v1, vcc, v1, v8
	v_mul_lo_u32 v10, s2, v1
	s_nop 0
	v_addc_co_u32_e32 v5, vcc, v5, v9, vcc
	v_mul_lo_u32 v8, s2, v5
	v_mul_hi_u32 v9, s2, v1
	v_add_u32_e32 v8, v9, v8
	v_mul_lo_u32 v9, s3, v1
	v_add_u32_e32 v12, v8, v9
	v_mul_hi_u32 v14, v5, v10
	v_mul_lo_u32 v15, v5, v10
	v_mul_hi_u32 v9, v1, v12
	v_mul_lo_u32 v8, v1, v12
	v_mul_hi_u32 v10, v1, v10
	v_mov_b32_e32 v11, v4
	v_lshl_add_u64 v[8:9], v[10:11], 0, v[8:9]
	v_add_co_u32_e32 v8, vcc, v8, v15
	v_mul_hi_u32 v13, v5, v12
	s_nop 0
	v_addc_co_u32_e32 v8, vcc, v9, v14, vcc
	v_mul_lo_u32 v10, v5, v12
	s_nop 0
	v_addc_co_u32_e32 v11, vcc, 0, v13, vcc
	v_mov_b32_e32 v9, v4
	v_lshl_add_u64 v[8:9], v[8:9], 0, v[10:11]
	v_add_co_u32_e32 v1, vcc, v1, v8
	v_mul_hi_u32 v10, v6, v1
	s_nop 0
	v_addc_co_u32_e32 v5, vcc, v5, v9, vcc
	v_mad_u64_u32 v[8:9], s[2:3], v6, v5, 0
	v_mov_b32_e32 v11, v4
	v_lshl_add_u64 v[8:9], v[10:11], 0, v[8:9]
	v_mad_u64_u32 v[12:13], s[2:3], v7, v1, 0
	v_add_co_u32_e32 v1, vcc, v8, v12
	v_mad_u64_u32 v[10:11], s[2:3], v7, v5, 0
	s_nop 0
	v_addc_co_u32_e32 v8, vcc, v9, v13, vcc
	v_mov_b32_e32 v9, v4
	s_nop 0
	v_addc_co_u32_e32 v11, vcc, 0, v11, vcc
	v_lshl_add_u64 v[8:9], v[8:9], 0, v[10:11]
	v_mul_lo_u32 v1, s19, v8
	v_mul_lo_u32 v5, s18, v9
	v_mad_u64_u32 v[10:11], s[2:3], s18, v8, 0
	v_add3_u32 v1, v11, v5, v1
	v_sub_u32_e32 v5, v7, v1
	v_mov_b32_e32 v11, s19
	v_sub_co_u32_e32 v14, vcc, v6, v10
	v_lshl_add_u64 v[12:13], v[8:9], 0, 1
	s_nop 0
	v_subb_co_u32_e64 v5, s[2:3], v5, v11, vcc
	v_subrev_co_u32_e64 v10, s[2:3], s18, v14
	v_subb_co_u32_e32 v1, vcc, v7, v1, vcc
	s_nop 0
	v_subbrev_co_u32_e64 v5, s[2:3], 0, v5, s[2:3]
	v_cmp_le_u32_e64 s[2:3], s19, v5
	v_cmp_le_u32_e32 vcc, s19, v1
	s_nop 0
	v_cndmask_b32_e64 v11, 0, -1, s[2:3]
	v_cmp_le_u32_e64 s[2:3], s18, v10
	s_nop 1
	v_cndmask_b32_e64 v10, 0, -1, s[2:3]
	v_cmp_eq_u32_e64 s[2:3], s19, v5
	s_nop 1
	v_cndmask_b32_e64 v5, v11, v10, s[2:3]
	v_lshl_add_u64 v[10:11], v[8:9], 0, 2
	v_cmp_ne_u32_e64 s[2:3], 0, v5
	s_nop 1
	v_cndmask_b32_e64 v5, v13, v11, s[2:3]
	v_cndmask_b32_e64 v11, 0, -1, vcc
	v_cmp_le_u32_e32 vcc, s18, v14
	s_nop 1
	v_cndmask_b32_e64 v13, 0, -1, vcc
	v_cmp_eq_u32_e32 vcc, s19, v1
	s_nop 1
	v_cndmask_b32_e32 v1, v11, v13, vcc
	v_cmp_ne_u32_e32 vcc, 0, v1
	v_cndmask_b32_e64 v1, v12, v10, s[2:3]
	s_nop 0
	v_cndmask_b32_e32 v9, v9, v5, vcc
	v_cndmask_b32_e32 v8, v8, v1, vcc
.LBB0_4:                                ;   in Loop: Header=BB0_2 Depth=1
	s_andn2_saveexec_b64 s[2:3], s[20:21]
	s_cbranch_execz .LBB0_6
; %bb.5:                                ;   in Loop: Header=BB0_2 Depth=1
	v_cvt_f32_u32_e32 v1, s18
	s_sub_i32 s20, 0, s18
	v_rcp_iflag_f32_e32 v1, v1
	s_nop 0
	v_mul_f32_e32 v1, 0x4f7ffffe, v1
	v_cvt_u32_f32_e32 v1, v1
	v_mul_lo_u32 v5, s20, v1
	v_mul_hi_u32 v5, v1, v5
	v_add_u32_e32 v1, v1, v5
	v_mul_hi_u32 v1, v6, v1
	v_mul_lo_u32 v5, v1, s18
	v_sub_u32_e32 v5, v6, v5
	v_add_u32_e32 v8, 1, v1
	v_subrev_u32_e32 v9, s18, v5
	v_cmp_le_u32_e32 vcc, s18, v5
	s_nop 1
	v_cndmask_b32_e32 v5, v5, v9, vcc
	v_cndmask_b32_e32 v1, v1, v8, vcc
	v_add_u32_e32 v8, 1, v1
	v_cmp_le_u32_e32 vcc, s18, v5
	v_mov_b32_e32 v9, v4
	s_nop 0
	v_cndmask_b32_e32 v8, v1, v8, vcc
.LBB0_6:                                ;   in Loop: Header=BB0_2 Depth=1
	s_or_b64 exec, exec, s[2:3]
	v_mad_u64_u32 v[10:11], s[2:3], v8, s18, 0
	s_load_dwordx2 s[2:3], s[12:13], 0x0
	v_mul_lo_u32 v1, v9, s18
	v_mul_lo_u32 v5, v8, s19
	v_add3_u32 v1, v11, v5, v1
	v_sub_co_u32_e32 v5, vcc, v6, v10
	s_add_u32 s14, s14, 1
	s_nop 0
	v_subb_co_u32_e32 v1, vcc, v7, v1, vcc
	s_addc_u32 s15, s15, 0
	s_waitcnt lgkmcnt(0)
	v_mul_lo_u32 v1, s2, v1
	v_mul_lo_u32 v6, s3, v5
	v_mad_u64_u32 v[2:3], s[2:3], s2, v5, v[2:3]
	s_add_u32 s12, s12, 8
	v_add3_u32 v3, v6, v3, v1
	s_addc_u32 s13, s13, 0
	v_mov_b64_e32 v[6:7], s[6:7]
	s_add_u32 s16, s16, 8
	v_cmp_ge_u64_e32 vcc, s[14:15], v[6:7]
	s_addc_u32 s17, s17, 0
	s_cbranch_vccnz .LBB0_9
; %bb.7:                                ;   in Loop: Header=BB0_2 Depth=1
	v_mov_b64_e32 v[6:7], v[8:9]
	s_branch .LBB0_2
.LBB0_8:
	v_mov_b64_e32 v[8:9], v[6:7]
.LBB0_9:
	s_lshl_b64 s[2:3], s[6:7], 3
	s_add_u32 s2, s10, s2
	s_addc_u32 s3, s11, s3
	s_load_dwordx2 s[6:7], s[2:3], 0x0
	s_load_dwordx2 s[10:11], s[0:1], 0x20
	s_mov_b32 s2, 0x2828283
	s_waitcnt lgkmcnt(0)
	v_mul_lo_u32 v1, s6, v9
	v_mul_lo_u32 v4, s7, v8
	v_mad_u64_u32 v[2:3], s[0:1], s6, v8, v[2:3]
	v_add3_u32 v3, v4, v3, v1
	v_mul_hi_u32 v1, v0, s2
	v_mul_u32_u24_e32 v1, 0x66, v1
	v_cmp_gt_u64_e64 s[0:1], s[10:11], v[8:9]
	v_sub_u32_e32 v32, v0, v1
	v_lshl_add_u64 v[34:35], v[2:3], 3, s[8:9]
	s_and_saveexec_b64 s[2:3], s[0:1]
	s_cbranch_execz .LBB0_13
; %bb.10:
	v_mov_b32_e32 v33, 0
	v_lshl_add_u64 v[0:1], v[32:33], 3, v[34:35]
	s_movk_i32 s6, 0x1000
	v_add_co_u32_e32 v10, vcc, s6, v0
	s_movk_i32 s6, 0x2000
	s_nop 0
	v_addc_co_u32_e32 v11, vcc, 0, v1, vcc
	global_load_dwordx2 v[2:3], v[0:1], off
	global_load_dwordx2 v[4:5], v[0:1], off offset:816
	global_load_dwordx2 v[6:7], v[0:1], off offset:1632
	global_load_dwordx2 v[8:9], v[0:1], off offset:2448
	global_load_dwordx2 v[12:13], v[0:1], off offset:3264
	global_load_dwordx2 v[14:15], v[0:1], off offset:4080
	global_load_dwordx2 v[16:17], v[10:11], off offset:800
	global_load_dwordx2 v[18:19], v[10:11], off offset:1616
	v_add_co_u32_e32 v0, vcc, s6, v0
	s_movk_i32 s6, 0x65
	s_nop 0
	v_addc_co_u32_e32 v1, vcc, 0, v1, vcc
	global_load_dwordx2 v[20:21], v[10:11], off offset:2432
	global_load_dwordx2 v[22:23], v[10:11], off offset:3248
	;; [unrolled: 1-line block ×8, first 2 shown]
	v_lshl_add_u32 v0, v32, 3, 0
	v_cmp_eq_u32_e32 vcc, s6, v32
	v_add_u32_e32 v1, 0x400, v0
	v_add_u32_e32 v10, 0x800, v0
	;; [unrolled: 1-line block ×7, first 2 shown]
	s_waitcnt vmcnt(14)
	ds_write2_b64 v0, v[2:3], v[4:5] offset1:102
	s_waitcnt vmcnt(12)
	ds_write2_b64 v1, v[6:7], v[8:9] offset0:76 offset1:178
	s_waitcnt vmcnt(10)
	ds_write2_b64 v10, v[12:13], v[14:15] offset0:152 offset1:254
	s_waitcnt vmcnt(8)
	ds_write2_b64 v11, v[16:17], v[18:19] offset0:100 offset1:202
	s_waitcnt vmcnt(6)
	ds_write2_b64 v40, v[20:21], v[22:23] offset0:48 offset1:150
	s_waitcnt vmcnt(4)
	ds_write2_b64 v41, v[24:25], v[26:27] offset0:124 offset1:226
	s_waitcnt vmcnt(2)
	ds_write2_b64 v42, v[28:29], v[30:31] offset0:72 offset1:174
	s_waitcnt vmcnt(0)
	ds_write2_b64 v43, v[36:37], v[38:39] offset0:148 offset1:250
	s_and_saveexec_b64 s[6:7], vcc
	s_cbranch_execz .LBB0_12
; %bb.11:
	v_add_co_u32_e32 v0, vcc, 0x3000, v34
	v_mov_b32_e32 v32, 0x65
	s_nop 0
	v_addc_co_u32_e32 v1, vcc, 0, v35, vcc
	global_load_dwordx2 v[0:1], v[0:1], off offset:768
	s_waitcnt vmcnt(0)
	ds_write_b64 v33, v[0:1] offset:13056
.LBB0_12:
	s_or_b64 exec, exec, s[6:7]
.LBB0_13:
	s_or_b64 exec, exec, s[2:3]
	v_lshlrev_b32_e32 v0, 3, v32
	v_add_u32_e32 v180, 0, v0
	s_waitcnt lgkmcnt(0)
	s_barrier
	v_sub_u32_e32 v4, 0, v0
	ds_read_b32 v1, v180
	ds_read_b32 v2, v4 offset:13056
	s_add_u32 s2, s4, 0x3278
	s_addc_u32 s3, s5, 0
	v_cmp_ne_u32_e32 vcc, 0, v32
	s_waitcnt lgkmcnt(0)
	v_add_f32_e32 v0, v2, v1
	v_sub_f32_e32 v1, v1, v2
                                        ; implicit-def: $vgpr2_vgpr3
	s_and_saveexec_b64 s[6:7], vcc
	s_xor_b64 s[6:7], exec, s[6:7]
	s_cbranch_execz .LBB0_15
; %bb.14:
	v_mov_b32_e32 v33, 0
	v_lshl_add_u64 v[2:3], v[32:33], 3, s[2:3]
	global_load_dwordx2 v[6:7], v[2:3], off
	ds_read_b32 v5, v4 offset:13060
	ds_read_b32 v11, v180 offset:4
	v_mov_b32_e32 v8, v1
	v_mov_b32_e32 v10, v0
	;; [unrolled: 1-line block ×3, first 2 shown]
	v_mov_b64_e32 v[2:3], v[32:33]
	s_waitcnt lgkmcnt(0)
	v_add_f32_e32 v9, v5, v11
	v_sub_f32_e32 v11, v11, v5
	v_mov_b32_e32 v12, v9
	s_waitcnt vmcnt(0)
	v_pk_mul_f32 v[14:15], v[8:9], v[6:7] op_sel:[0,1]
	v_pk_fma_f32 v[8:9], v[8:9], v[6:7], v[10:11] op_sel:[0,1,0]
	v_mov_b32_e32 v1, v15
	v_mov_b32_e32 v15, v11
	v_pk_fma_f32 v[16:17], v[6:7], v[12:13], v[8:9] neg_lo:[1,0,0] neg_hi:[1,0,0]
	v_pk_fma_f32 v[8:9], v[6:7], v[12:13], v[8:9] op_sel_hi:[0,1,1]
	v_pk_add_f32 v[0:1], v[0:1], v[14:15] neg_lo:[0,1] neg_hi:[0,1]
	v_mov_b32_e32 v17, v9
	v_pk_fma_f32 v[0:1], v[6:7], v[12:13], v[0:1] op_sel_hi:[0,1,1]
	ds_write_b64 v4, v[0:1] offset:13056
	v_mov_b64_e32 v[0:1], v[16:17]
.LBB0_15:
	s_andn2_saveexec_b64 s[6:7], s[6:7]
	s_cbranch_execz .LBB0_17
; %bb.16:
	v_mov_b32_e32 v5, 0
	ds_read_b64 v[2:3], v5 offset:6528
	s_mov_b32 s8, 2.0
	s_mov_b32 s9, -2.0
	s_waitcnt lgkmcnt(0)
	v_pk_mul_f32 v[2:3], v[2:3], s[8:9]
	ds_write_b64 v5, v[2:3] offset:6528
	v_mov_b64_e32 v[2:3], 0
.LBB0_17:
	s_or_b64 exec, exec, s[6:7]
	v_lshl_add_u64 v[2:3], v[2:3], 3, s[2:3]
	global_load_dwordx2 v[2:3], v[2:3], off offset:816
	v_add_u32_e32 v40, 0xcc, v32
	v_mov_b32_e32 v41, 0
	v_lshl_add_u64 v[6:7], v[40:41], 3, s[2:3]
	global_load_dwordx2 v[6:7], v[6:7], off
	v_add_u32_e32 v42, 0x132, v32
	v_mov_b32_e32 v43, v41
	v_lshl_add_u64 v[8:9], v[42:43], 3, s[2:3]
	global_load_dwordx2 v[8:9], v[8:9], off
	v_add_u32_e32 v38, 0x198, v32
	v_mov_b32_e32 v39, v41
	ds_write_b64 v180, v[0:1]
	v_lshl_add_u64 v[0:1], v[38:39], 3, s[2:3]
	global_load_dwordx2 v[0:1], v[0:1], off
	v_add_u32_e32 v36, 0x1fe, v32
	v_mov_b32_e32 v37, v41
	v_lshl_add_u64 v[14:15], v[36:37], 3, s[2:3]
	ds_read_b64 v[10:11], v4 offset:12240
	ds_read_b64 v[12:13], v180 offset:816
	global_load_dwordx2 v[14:15], v[14:15], off
	v_add_u32_e32 v46, 0x264, v32
	v_mov_b32_e32 v47, v41
	v_lshl_add_u32 v33, v40, 3, 0
	s_waitcnt lgkmcnt(0)
	v_pk_add_f32 v[16:17], v[12:13], v[10:11]
	v_pk_add_f32 v[10:11], v[12:13], v[10:11] neg_lo:[0,1] neg_hi:[0,1]
	v_mov_b32_e32 v12, v17
	v_mov_b32_e32 v13, v10
	;; [unrolled: 1-line block ×3, first 2 shown]
	v_add_u32_e32 v48, 0x2ca, v32
	v_mov_b32_e32 v49, v41
	v_lshl_add_u32 v43, v42, 3, 0
	v_lshl_add_u32 v37, v38, 3, 0
	;; [unrolled: 1-line block ×4, first 2 shown]
	s_mov_b32 s18, 0xbeb8f4ab
	s_mov_b32 s10, 0x3f6eb680
	;; [unrolled: 1-line block ×10, first 2 shown]
	v_add_u32_e32 v182, 0x1000, v180
	v_add_u32_e32 v181, 0x1c00, v180
	s_mov_b32 s22, 0xbf4c4adb
	s_mov_b32 s20, 0xbf1a4643
	;; [unrolled: 1-line block ×4, first 2 shown]
	v_add_u32_e32 v183, 0x1800, v180
	s_mov_b32 s36, 0xbe3c28d5
	s_mov_b32 s34, 0xbf7ba420
	s_waitcnt vmcnt(4)
	v_pk_mul_f32 v[18:19], v[12:13], v[2:3] op_sel:[0,1]
	s_nop 0
	v_pk_add_f32 v[20:21], v[16:17], v[18:19] op_sel:[0,1] op_sel_hi:[1,0]
	v_mov_b32_e32 v17, v18
	v_mov_b32_e32 v10, v19
	v_pk_fma_f32 v[18:19], v[2:3], v[12:13], v[20:21] neg_lo:[1,0,0] neg_hi:[1,0,0]
	v_pk_fma_f32 v[20:21], v[2:3], v[12:13], v[20:21] op_sel_hi:[0,1,1]
	v_pk_add_f32 v[10:11], v[16:17], v[10:11] neg_lo:[0,1] neg_hi:[0,1]
	v_mov_b32_e32 v19, v21
	v_pk_fma_f32 v[2:3], v[2:3], v[12:13], v[10:11] op_sel_hi:[0,1,1]
	ds_write_b64 v180, v[18:19] offset:816
	ds_write_b64 v4, v[2:3] offset:12240
	v_lshl_add_u64 v[12:13], v[46:47], 3, s[2:3]
	ds_read_b64 v[2:3], v4 offset:11424
	ds_read_b64 v[10:11], v33
	global_load_dwordx2 v[12:13], v[12:13], off
	v_add_u32_e32 v47, 0x2800, v180
	s_waitcnt lgkmcnt(0)
	v_pk_add_f32 v[16:17], v[10:11], v[2:3]
	v_pk_add_f32 v[2:3], v[10:11], v[2:3] neg_lo:[0,1] neg_hi:[0,1]
	v_mov_b32_e32 v10, v17
	v_mov_b32_e32 v11, v2
	v_mov_b32_e32 v17, v3
	s_waitcnt vmcnt(4)
	v_pk_mul_f32 v[18:19], v[10:11], v[6:7] op_sel:[0,1]
	s_nop 0
	v_pk_add_f32 v[20:21], v[16:17], v[18:19] op_sel:[0,1] op_sel_hi:[1,0]
	v_mov_b32_e32 v17, v18
	v_mov_b32_e32 v2, v19
	v_pk_fma_f32 v[18:19], v[6:7], v[10:11], v[20:21] neg_lo:[1,0,0] neg_hi:[1,0,0]
	v_pk_fma_f32 v[20:21], v[6:7], v[10:11], v[20:21] op_sel_hi:[0,1,1]
	v_pk_add_f32 v[2:3], v[16:17], v[2:3] neg_lo:[0,1] neg_hi:[0,1]
	v_mov_b32_e32 v19, v21
	v_pk_fma_f32 v[2:3], v[6:7], v[10:11], v[2:3] op_sel_hi:[0,1,1]
	ds_write_b64 v33, v[18:19]
	ds_write_b64 v4, v[2:3] offset:11424
	v_lshl_add_u64 v[10:11], v[48:49], 3, s[2:3]
	ds_read_b64 v[2:3], v4 offset:10608
	ds_read_b64 v[6:7], v43
	global_load_dwordx2 v[10:11], v[10:11], off
	v_lshl_add_u32 v49, v48, 3, 0
	s_movk_i32 s2, 0x60
	v_cmp_gt_u32_e32 vcc, s2, v32
	s_waitcnt lgkmcnt(0)
	v_pk_add_f32 v[16:17], v[6:7], v[2:3]
	v_pk_add_f32 v[2:3], v[6:7], v[2:3] neg_lo:[0,1] neg_hi:[0,1]
	v_mov_b32_e32 v6, v17
	v_mov_b32_e32 v7, v2
	v_mov_b32_e32 v17, v3
	s_waitcnt vmcnt(4)
	v_pk_mul_f32 v[18:19], v[6:7], v[8:9] op_sel:[0,1]
	s_nop 0
	v_pk_add_f32 v[20:21], v[16:17], v[18:19] op_sel:[0,1] op_sel_hi:[1,0]
	v_mov_b32_e32 v17, v18
	v_mov_b32_e32 v2, v19
	v_pk_fma_f32 v[18:19], v[8:9], v[6:7], v[20:21] neg_lo:[1,0,0] neg_hi:[1,0,0]
	v_pk_fma_f32 v[20:21], v[8:9], v[6:7], v[20:21] op_sel_hi:[0,1,1]
	v_pk_add_f32 v[2:3], v[16:17], v[2:3] neg_lo:[0,1] neg_hi:[0,1]
	v_mov_b32_e32 v19, v21
	v_pk_fma_f32 v[2:3], v[8:9], v[6:7], v[2:3] op_sel_hi:[0,1,1]
	ds_write_b64 v43, v[18:19]
	ds_write_b64 v4, v[2:3] offset:10608
	ds_read_b64 v[2:3], v4 offset:9792
	ds_read_b64 v[6:7], v37
	s_waitcnt lgkmcnt(0)
	v_pk_add_f32 v[8:9], v[6:7], v[2:3]
	v_pk_add_f32 v[2:3], v[6:7], v[2:3] neg_lo:[0,1] neg_hi:[0,1]
	v_mov_b32_e32 v6, v9
	v_mov_b32_e32 v7, v2
	v_mov_b32_e32 v9, v3
	s_waitcnt vmcnt(3)
	v_pk_mul_f32 v[16:17], v[6:7], v[0:1] op_sel:[0,1]
	s_nop 0
	v_pk_add_f32 v[18:19], v[8:9], v[16:17] op_sel:[0,1] op_sel_hi:[1,0]
	v_mov_b32_e32 v9, v16
	v_mov_b32_e32 v2, v17
	v_pk_fma_f32 v[16:17], v[0:1], v[6:7], v[18:19] neg_lo:[1,0,0] neg_hi:[1,0,0]
	v_pk_fma_f32 v[18:19], v[0:1], v[6:7], v[18:19] op_sel_hi:[0,1,1]
	v_pk_add_f32 v[2:3], v[8:9], v[2:3] neg_lo:[0,1] neg_hi:[0,1]
	v_mov_b32_e32 v17, v19
	v_pk_fma_f32 v[0:1], v[0:1], v[6:7], v[2:3] op_sel_hi:[0,1,1]
	ds_write_b64 v37, v[16:17]
	ds_write_b64 v4, v[0:1] offset:9792
	ds_read_b64 v[0:1], v4 offset:8976
	ds_read_b64 v[2:3], v41
	;; [unrolled: 21-line block ×4, first 2 shown]
	s_waitcnt lgkmcnt(0)
	v_pk_add_f32 v[6:7], v[2:3], v[0:1]
	v_pk_add_f32 v[0:1], v[2:3], v[0:1] neg_lo:[0,1] neg_hi:[0,1]
	v_mov_b32_e32 v2, v7
	v_mov_b32_e32 v3, v0
	;; [unrolled: 1-line block ×3, first 2 shown]
	s_waitcnt vmcnt(0)
	v_pk_mul_f32 v[8:9], v[2:3], v[10:11] op_sel:[0,1]
	s_nop 0
	v_pk_add_f32 v[12:13], v[6:7], v[8:9] op_sel:[0,1] op_sel_hi:[1,0]
	v_mov_b32_e32 v7, v8
	v_mov_b32_e32 v0, v9
	v_pk_fma_f32 v[8:9], v[10:11], v[2:3], v[12:13] neg_lo:[1,0,0] neg_hi:[1,0,0]
	v_pk_fma_f32 v[12:13], v[10:11], v[2:3], v[12:13] op_sel_hi:[0,1,1]
	v_pk_add_f32 v[0:1], v[6:7], v[0:1] neg_lo:[0,1] neg_hi:[0,1]
	v_mov_b32_e32 v9, v13
	v_pk_fma_f32 v[0:1], v[10:11], v[2:3], v[0:1] op_sel_hi:[0,1,1]
	ds_write_b64 v49, v[8:9]
	ds_write_b64 v4, v[0:1] offset:7344
	s_waitcnt lgkmcnt(0)
	s_barrier
	s_barrier
	ds_read2_b64 v[0:3], v180 offset1:96
	ds_read_b64 v[52:53], v180 offset:12288
	v_add_u32_e32 v4, 0x400, v180
	ds_read2_b64 v[8:11], v4 offset0:64 offset1:160
	ds_read2_b64 v[4:7], v47 offset0:64 offset1:160
	s_waitcnt lgkmcnt(2)
	v_pk_add_f32 v[58:59], v[2:3], v[52:53] neg_lo:[0,1] neg_hi:[0,1]
	v_pk_add_f32 v[50:51], v[52:53], v[2:3]
	v_pk_mul_f32 v[12:13], v[58:59], s[18:19] op_sel_hi:[1,0]
	s_waitcnt lgkmcnt(0)
	v_pk_add_f32 v[60:61], v[8:9], v[6:7] neg_lo:[0,1] neg_hi:[0,1]
	v_pk_fma_f32 v[82:83], v[50:51], s[10:11], v[12:13] op_sel:[0,0,1] op_sel_hi:[1,0,0] neg_lo:[0,0,1] neg_hi:[0,0,1]
	v_pk_fma_f32 v[84:85], v[50:51], s[10:11], v[12:13] op_sel:[0,0,1] op_sel_hi:[1,0,0]
	v_pk_add_f32 v[54:55], v[6:7], v[8:9]
	v_pk_mul_f32 v[14:15], v[60:61], s[30:31] op_sel_hi:[1,0]
	v_mov_b32_e32 v12, v84
	v_mov_b32_e32 v13, v83
	v_pk_fma_f32 v[86:87], v[54:55], s[6:7], v[14:15] op_sel:[0,0,1] op_sel_hi:[1,0,0] neg_lo:[0,0,1] neg_hi:[0,0,1]
	v_pk_fma_f32 v[88:89], v[54:55], s[6:7], v[14:15] op_sel:[0,0,1] op_sel_hi:[1,0,0]
	v_pk_add_f32 v[12:13], v[0:1], v[12:13]
	v_mov_b32_e32 v14, v88
	v_mov_b32_e32 v15, v87
	v_pk_add_f32 v[62:63], v[10:11], v[4:5] neg_lo:[0,1] neg_hi:[0,1]
	v_pk_add_f32 v[20:21], v[14:15], v[12:13]
	v_pk_add_f32 v[56:57], v[4:5], v[10:11]
	v_pk_mul_f32 v[12:13], v[62:63], s[38:39] op_sel_hi:[1,0]
	s_nop 0
	v_pk_fma_f32 v[92:93], v[56:57], s[8:9], v[12:13] op_sel:[0,0,1] op_sel_hi:[1,0,0] neg_lo:[0,0,1] neg_hi:[0,0,1]
	v_pk_fma_f32 v[94:95], v[56:57], s[8:9], v[12:13] op_sel:[0,0,1] op_sel_hi:[1,0,0]
	v_add_u32_e32 v12, 0x800, v180
	v_add_u32_e32 v13, 0x2000, v180
	ds_read2_b64 v[16:19], v12 offset0:128 offset1:224
	ds_read2_b64 v[12:15], v13 offset0:128 offset1:224
	v_mov_b32_e32 v22, v94
	v_mov_b32_e32 v23, v93
	v_pk_add_f32 v[20:21], v[22:23], v[20:21]
	s_waitcnt lgkmcnt(0)
	v_pk_add_f32 v[66:67], v[16:17], v[14:15] neg_lo:[0,1] neg_hi:[0,1]
	v_pk_add_f32 v[64:65], v[14:15], v[16:17]
	v_pk_mul_f32 v[22:23], v[66:67], s[28:29] op_sel_hi:[1,0]
	v_pk_add_f32 v[70:71], v[18:19], v[12:13] neg_lo:[0,1] neg_hi:[0,1]
	v_pk_fma_f32 v[96:97], v[64:65], s[12:13], v[22:23] op_sel:[0,0,1] op_sel_hi:[1,0,0] neg_lo:[0,0,1] neg_hi:[0,0,1]
	v_pk_fma_f32 v[98:99], v[64:65], s[12:13], v[22:23] op_sel:[0,0,1] op_sel_hi:[1,0,0]
	v_mov_b32_e32 v23, v97
	v_mov_b32_e32 v22, v98
	v_pk_add_f32 v[28:29], v[22:23], v[20:21]
	v_pk_add_f32 v[68:69], v[12:13], v[18:19]
	v_pk_mul_f32 v[20:21], v[70:71], s[16:17] op_sel_hi:[1,0]
	s_nop 0
	v_pk_fma_f32 v[100:101], v[68:69], s[14:15], v[20:21] op_sel:[0,0,1] op_sel_hi:[1,0,0] neg_lo:[0,0,1] neg_hi:[0,0,1]
	v_pk_fma_f32 v[102:103], v[68:69], s[14:15], v[20:21] op_sel:[0,0,1] op_sel_hi:[1,0,0]
	ds_read2_b64 v[24:27], v182 offset0:64 offset1:160
	ds_read2_b64 v[20:23], v181 offset0:64 offset1:160
	v_mov_b32_e32 v30, v102
	v_mov_b32_e32 v31, v101
	v_pk_add_f32 v[28:29], v[30:31], v[28:29]
	s_waitcnt lgkmcnt(0)
	v_pk_add_f32 v[74:75], v[24:25], v[22:23] neg_lo:[0,1] neg_hi:[0,1]
	v_pk_add_f32 v[72:73], v[22:23], v[24:25]
	v_pk_mul_f32 v[30:31], v[74:75], s[22:23] op_sel_hi:[1,0]
	v_pk_add_f32 v[78:79], v[26:27], v[20:21] neg_lo:[0,1] neg_hi:[0,1]
	v_pk_fma_f32 v[104:105], v[72:73], s[20:21], v[30:31] op_sel:[0,0,1] op_sel_hi:[1,0,0] neg_lo:[0,0,1] neg_hi:[0,0,1]
	v_pk_fma_f32 v[106:107], v[72:73], s[20:21], v[30:31] op_sel:[0,0,1] op_sel_hi:[1,0,0]
	v_mov_b32_e32 v31, v105
	v_mov_b32_e32 v30, v106
	v_pk_add_f32 v[44:45], v[30:31], v[28:29]
	v_pk_add_f32 v[76:77], v[20:21], v[26:27]
	v_pk_mul_f32 v[28:29], v[78:79], s[26:27] op_sel_hi:[1,0]
	s_nop 0
	v_pk_fma_f32 v[108:109], v[76:77], s[24:25], v[28:29] op_sel:[0,0,1] op_sel_hi:[1,0,0] neg_lo:[0,0,1] neg_hi:[0,0,1]
	v_pk_fma_f32 v[110:111], v[76:77], s[24:25], v[28:29] op_sel:[0,0,1] op_sel_hi:[1,0,0]
	ds_read2_b64 v[28:31], v183 offset1:96
	v_mov_b32_e32 v80, v110
	v_mov_b32_e32 v81, v109
	v_pk_add_f32 v[44:45], v[80:81], v[44:45]
	s_waitcnt lgkmcnt(0)
	v_pk_add_f32 v[90:91], v[28:29], v[30:31] neg_lo:[0,1] neg_hi:[0,1]
	v_pk_add_f32 v[80:81], v[30:31], v[28:29]
	v_pk_mul_f32 v[114:115], v[90:91], s[36:37] op_sel_hi:[1,0]
	s_barrier
	v_pk_fma_f32 v[112:113], v[80:81], s[34:35], v[114:115] op_sel:[0,0,1] op_sel_hi:[1,0,0] neg_lo:[0,0,1] neg_hi:[0,0,1]
	v_pk_fma_f32 v[114:115], v[80:81], s[34:35], v[114:115] op_sel:[0,0,1] op_sel_hi:[1,0,0]
	v_mov_b32_e32 v117, v113
	v_mov_b32_e32 v116, v114
	v_pk_add_f32 v[44:45], v[116:117], v[44:45]
	s_and_saveexec_b64 s[2:3], vcc
	s_cbranch_execz .LBB0_19
; %bb.18:
	v_pk_add_f32 v[2:3], v[0:1], v[2:3]
	v_mov_b32_e32 v83, v85
	v_pk_add_f32 v[2:3], v[2:3], v[8:9]
	v_mov_b32_e32 v87, v89
	;; [unrolled: 2-line block ×7, first 2 shown]
	v_pk_add_f32 v[2:3], v[2:3], v[28:29]
	s_movk_i32 s7, 0x88
	v_pk_add_f32 v[2:3], v[2:3], v[30:31]
	v_mov_b32_e32 v113, v115
	v_pk_add_f32 v[2:3], v[2:3], v[20:21]
	v_mad_u32_u24 v184, v32, s7, 0
	v_pk_add_f32 v[2:3], v[2:3], v[22:23]
	v_pk_mul_f32 v[8:9], v[60:61], s[28:29] op_sel_hi:[1,0]
	v_pk_add_f32 v[2:3], v[2:3], v[12:13]
	s_mov_b32 s48, 0x3f06c442
	v_pk_add_f32 v[2:3], v[2:3], v[14:15]
	s_mov_b32 s46, 0x3f763a35
	v_pk_add_f32 v[2:3], v[2:3], v[4:5]
	v_pk_add_f32 v[4:5], v[0:1], v[82:83]
	;; [unrolled: 1-line block ×6, first 2 shown]
	s_mov_b32 s40, 0x3f65296c
	v_pk_add_f32 v[4:5], v[96:97], v[4:5]
	s_mov_b32 s44, 0x3eb8f4ab
	v_pk_add_f32 v[4:5], v[100:101], v[4:5]
	v_pk_mul_f32 v[88:89], v[60:61], s[22:23] op_sel_hi:[1,0]
	v_pk_add_f32 v[4:5], v[104:105], v[4:5]
	s_mov_b32 s42, 0x3e3c28d5
	v_pk_add_f32 v[4:5], v[108:109], v[4:5]
	v_pk_mul_f32 v[94:95], v[62:63], s[42:43] op_sel_hi:[1,0]
	v_pk_add_f32 v[4:5], v[112:113], v[4:5]
	ds_write2_b64 v184, v[2:3], v[4:5] offset1:1
	v_pk_mul_f32 v[4:5], v[58:59], s[30:31] op_sel_hi:[1,0]
	v_pk_mul_f32 v[98:99], v[66:67], s[46:47] op_sel_hi:[1,0]
	v_pk_fma_f32 v[2:3], v[50:51], s[6:7], v[4:5] op_sel:[0,0,1] op_sel_hi:[1,0,0] neg_lo:[0,0,1] neg_hi:[0,0,1]
	v_pk_fma_f32 v[4:5], v[50:51], s[6:7], v[4:5] op_sel:[0,0,1] op_sel_hi:[1,0,0]
	v_mov_b32_e32 v6, v2
	v_mov_b32_e32 v7, v5
	v_pk_add_f32 v[10:11], v[0:1], v[6:7]
	v_pk_fma_f32 v[6:7], v[54:55], s[12:13], v[8:9] op_sel:[0,0,1] op_sel_hi:[1,0,0] neg_lo:[0,0,1] neg_hi:[0,0,1]
	v_pk_fma_f32 v[8:9], v[54:55], s[12:13], v[8:9] op_sel:[0,0,1] op_sel_hi:[1,0,0]
	v_mov_b32_e32 v12, v6
	v_mov_b32_e32 v13, v9
	v_pk_add_f32 v[14:15], v[12:13], v[10:11]
	v_pk_mul_f32 v[12:13], v[62:63], s[22:23] op_sel_hi:[1,0]
	s_mov_b32 s42, 0x3f2c7751
	v_pk_fma_f32 v[10:11], v[56:57], s[20:21], v[12:13] op_sel:[0,0,1] op_sel_hi:[1,0,0] neg_lo:[0,0,1] neg_hi:[0,0,1]
	v_pk_fma_f32 v[12:13], v[56:57], s[20:21], v[12:13] op_sel:[0,0,1] op_sel_hi:[1,0,0]
	v_mov_b32_e32 v16, v10
	v_mov_b32_e32 v17, v13
	v_pk_add_f32 v[18:19], v[16:17], v[14:15]
	v_pk_mul_f32 v[16:17], v[66:67], s[36:37] op_sel_hi:[1,0]
	v_pk_mul_f32 v[102:103], v[70:71], s[42:43] op_sel_hi:[1,0]
	v_pk_fma_f32 v[14:15], v[64:65], s[34:35], v[16:17] op_sel:[0,0,1] op_sel_hi:[1,0,0] neg_lo:[0,0,1] neg_hi:[0,0,1]
	v_pk_fma_f32 v[16:17], v[64:65], s[34:35], v[16:17] op_sel:[0,0,1] op_sel_hi:[1,0,0]
	v_mov_b32_e32 v20, v14
	v_mov_b32_e32 v21, v17
	v_pk_add_f32 v[22:23], v[20:21], v[18:19]
	v_pk_mul_f32 v[20:21], v[70:71], s[48:49] op_sel_hi:[1,0]
	v_pk_mul_f32 v[106:107], v[74:75], s[18:19] op_sel_hi:[1,0]
	;; [unrolled: 7-line block ×5, first 2 shown]
	v_pk_fma_f32 v[30:31], v[80:81], s[10:11], v[52:53] op_sel:[0,0,1] op_sel_hi:[1,0,0] neg_lo:[0,0,1] neg_hi:[0,0,1]
	v_pk_fma_f32 v[52:53], v[80:81], s[10:11], v[52:53] op_sel:[0,0,1] op_sel_hi:[1,0,0]
	v_mov_b32_e32 v84, v30
	v_mov_b32_e32 v85, v53
	v_pk_add_f32 v[116:117], v[84:85], v[82:83]
	v_pk_mul_f32 v[84:85], v[58:59], s[38:39] op_sel_hi:[1,0]
	s_mov_b32 s50, 0x3f4c4adb
	v_pk_fma_f32 v[82:83], v[50:51], s[8:9], v[84:85] op_sel:[0,0,1] op_sel_hi:[1,0,0] neg_lo:[0,0,1] neg_hi:[0,0,1]
	v_pk_fma_f32 v[84:85], v[50:51], s[8:9], v[84:85] op_sel:[0,0,1] op_sel_hi:[1,0,0]
	v_mov_b32_e32 v86, v82
	v_mov_b32_e32 v87, v85
	v_pk_add_f32 v[92:93], v[0:1], v[86:87]
	v_pk_fma_f32 v[86:87], v[54:55], s[20:21], v[88:89] op_sel:[0,0,1] op_sel_hi:[1,0,0] neg_lo:[0,0,1] neg_hi:[0,0,1]
	v_pk_fma_f32 v[88:89], v[54:55], s[20:21], v[88:89] op_sel:[0,0,1] op_sel_hi:[1,0,0]
	v_mov_b32_e32 v96, v86
	v_mov_b32_e32 v97, v89
	v_pk_add_f32 v[96:97], v[96:97], v[92:93]
	;; [unrolled: 5-line block ×8, first 2 shown]
	ds_write2_b64 v184, v[116:117], v[118:119] offset0:2 offset1:3
	v_pk_mul_f32 v[118:119], v[58:59], s[28:29] op_sel_hi:[1,0]
	v_pk_mul_f32 v[192:193], v[60:61], s[46:47] op_sel_hi:[1,0]
	v_pk_fma_f32 v[116:117], v[50:51], s[12:13], v[118:119] op_sel:[0,0,1] op_sel_hi:[1,0,0] neg_lo:[0,0,1] neg_hi:[0,0,1]
	v_pk_fma_f32 v[118:119], v[50:51], s[12:13], v[118:119] op_sel:[0,0,1] op_sel_hi:[1,0,0]
	v_mov_b32_e32 v120, v116
	v_mov_b32_e32 v121, v119
	v_pk_add_f32 v[124:125], v[0:1], v[120:121]
	v_pk_fma_f32 v[120:121], v[54:55], s[34:35], v[122:123] op_sel:[0,0,1] op_sel_hi:[1,0,0] neg_lo:[0,0,1] neg_hi:[0,0,1]
	v_pk_fma_f32 v[122:123], v[54:55], s[34:35], v[122:123] op_sel:[0,0,1] op_sel_hi:[1,0,0]
	v_mov_b32_e32 v126, v120
	v_mov_b32_e32 v127, v123
	v_pk_add_f32 v[128:129], v[126:127], v[124:125]
	v_pk_mul_f32 v[126:127], v[62:63], s[46:47] op_sel_hi:[1,0]
	v_pk_fma_f32 v[194:195], v[54:55], s[14:15], v[192:193] op_sel:[0,0,1] op_sel_hi:[1,0,0] neg_lo:[0,0,1] neg_hi:[0,0,1]
	v_pk_fma_f32 v[124:125], v[56:57], s[14:15], v[126:127] op_sel:[0,0,1] op_sel_hi:[1,0,0] neg_lo:[0,0,1] neg_hi:[0,0,1]
	v_pk_fma_f32 v[126:127], v[56:57], s[14:15], v[126:127] op_sel:[0,0,1] op_sel_hi:[1,0,0]
	v_mov_b32_e32 v130, v124
	v_mov_b32_e32 v131, v127
	v_pk_add_f32 v[132:133], v[130:131], v[128:129]
	v_pk_mul_f32 v[130:131], v[66:67], s[44:45] op_sel_hi:[1,0]
	v_pk_fma_f32 v[192:193], v[54:55], s[14:15], v[192:193] op_sel:[0,0,1] op_sel_hi:[1,0,0]
	v_pk_fma_f32 v[128:129], v[64:65], s[10:11], v[130:131] op_sel:[0,0,1] op_sel_hi:[1,0,0] neg_lo:[0,0,1] neg_hi:[0,0,1]
	v_pk_fma_f32 v[130:131], v[64:65], s[10:11], v[130:131] op_sel:[0,0,1] op_sel_hi:[1,0,0]
	v_mov_b32_e32 v134, v128
	v_mov_b32_e32 v135, v131
	v_pk_add_f32 v[136:137], v[134:135], v[132:133]
	v_pk_mul_f32 v[134:135], v[70:71], s[38:39] op_sel_hi:[1,0]
	v_mov_b32_e32 v196, v194
	v_pk_fma_f32 v[132:133], v[68:69], s[8:9], v[134:135] op_sel:[0,0,1] op_sel_hi:[1,0,0] neg_lo:[0,0,1] neg_hi:[0,0,1]
	v_pk_fma_f32 v[134:135], v[68:69], s[8:9], v[134:135] op_sel:[0,0,1] op_sel_hi:[1,0,0]
	v_mov_b32_e32 v138, v132
	v_mov_b32_e32 v139, v135
	v_pk_add_f32 v[140:141], v[138:139], v[136:137]
	v_pk_mul_f32 v[138:139], v[74:75], s[26:27] op_sel_hi:[1,0]
	v_mov_b32_e32 v197, v193
	v_pk_fma_f32 v[136:137], v[72:73], s[24:25], v[138:139] op_sel:[0,0,1] op_sel_hi:[1,0,0] neg_lo:[0,0,1] neg_hi:[0,0,1]
	v_pk_fma_f32 v[138:139], v[72:73], s[24:25], v[138:139] op_sel:[0,0,1] op_sel_hi:[1,0,0]
	v_mov_b32_e32 v142, v136
	v_mov_b32_e32 v143, v139
	v_pk_add_f32 v[144:145], v[142:143], v[140:141]
	v_pk_mul_f32 v[142:143], v[78:79], s[50:51] op_sel_hi:[1,0]
	v_pk_mul_f32 v[226:227], v[60:61], s[40:41] op_sel_hi:[1,0]
	v_pk_fma_f32 v[140:141], v[76:77], s[20:21], v[142:143] op_sel:[0,0,1] op_sel_hi:[1,0,0] neg_lo:[0,0,1] neg_hi:[0,0,1]
	v_pk_fma_f32 v[142:143], v[76:77], s[20:21], v[142:143] op_sel:[0,0,1] op_sel_hi:[1,0,0]
	v_mov_b32_e32 v146, v140
	v_mov_b32_e32 v147, v143
	v_pk_add_f32 v[148:149], v[146:147], v[144:145]
	v_pk_mul_f32 v[146:147], v[90:91], s[42:43] op_sel_hi:[1,0]
	v_pk_fma_f32 v[228:229], v[54:55], s[8:9], v[226:227] op_sel:[0,0,1] op_sel_hi:[1,0,0] neg_lo:[0,0,1] neg_hi:[0,0,1]
	v_pk_fma_f32 v[144:145], v[80:81], s[6:7], v[146:147] op_sel:[0,0,1] op_sel_hi:[1,0,0] neg_lo:[0,0,1] neg_hi:[0,0,1]
	v_pk_fma_f32 v[146:147], v[80:81], s[6:7], v[146:147] op_sel:[0,0,1] op_sel_hi:[1,0,0]
	v_mov_b32_e32 v150, v144
	v_mov_b32_e32 v151, v147
	v_pk_add_f32 v[186:187], v[150:151], v[148:149]
	v_pk_mul_f32 v[148:149], v[58:59], s[16:17] op_sel_hi:[1,0]
	v_pk_fma_f32 v[226:227], v[54:55], s[8:9], v[226:227] op_sel:[0,0,1] op_sel_hi:[1,0,0]
	v_pk_fma_f32 v[150:151], v[50:51], s[14:15], v[148:149] op_sel:[0,0,1] op_sel_hi:[1,0,0] neg_lo:[0,0,1] neg_hi:[0,0,1]
	v_pk_fma_f32 v[148:149], v[50:51], s[14:15], v[148:149] op_sel:[0,0,1] op_sel_hi:[1,0,0]
	v_mov_b32_e32 v152, v150
	v_mov_b32_e32 v153, v149
	v_pk_add_f32 v[156:157], v[0:1], v[152:153]
	v_pk_mul_f32 v[152:153], v[60:61], s[48:49] op_sel_hi:[1,0]
	v_mov_b32_e32 v230, v228
	v_pk_fma_f32 v[154:155], v[54:55], s[24:25], v[152:153] op_sel:[0,0,1] op_sel_hi:[1,0,0] neg_lo:[0,0,1] neg_hi:[0,0,1]
	v_pk_fma_f32 v[152:153], v[54:55], s[24:25], v[152:153] op_sel:[0,0,1] op_sel_hi:[1,0,0]
	v_mov_b32_e32 v158, v154
	v_mov_b32_e32 v159, v153
	v_pk_add_f32 v[160:161], v[158:159], v[156:157]
	v_pk_mul_f32 v[158:159], v[62:63], s[42:43] op_sel_hi:[1,0]
	v_mov_b32_e32 v231, v227
	v_pk_fma_f32 v[156:157], v[56:57], s[6:7], v[158:159] op_sel:[0,0,1] op_sel_hi:[1,0,0] neg_lo:[0,0,1] neg_hi:[0,0,1]
	v_pk_fma_f32 v[158:159], v[56:57], s[6:7], v[158:159] op_sel:[0,0,1] op_sel_hi:[1,0,0]
	v_mov_b32_e32 v162, v156
	v_mov_b32_e32 v163, v159
	v_pk_add_f32 v[164:165], v[162:163], v[160:161]
	v_pk_mul_f32 v[162:163], v[66:67], s[38:39] op_sel_hi:[1,0]
	s_mov_b32 s38, 0x3f7ee86f
	v_pk_fma_f32 v[160:161], v[64:65], s[8:9], v[162:163] op_sel:[0,0,1] op_sel_hi:[1,0,0] neg_lo:[0,0,1] neg_hi:[0,0,1]
	v_pk_fma_f32 v[162:163], v[64:65], s[8:9], v[162:163] op_sel:[0,0,1] op_sel_hi:[1,0,0]
	v_mov_b32_e32 v166, v160
	v_mov_b32_e32 v167, v163
	v_pk_add_f32 v[168:169], v[166:167], v[164:165]
	v_pk_mul_f32 v[166:167], v[70:71], s[36:37] op_sel_hi:[1,0]
	v_mov_b32_e32 v227, v229
	v_pk_fma_f32 v[164:165], v[68:69], s[34:35], v[166:167] op_sel:[0,0,1] op_sel_hi:[1,0,0] neg_lo:[0,0,1] neg_hi:[0,0,1]
	v_pk_fma_f32 v[166:167], v[68:69], s[34:35], v[166:167] op_sel:[0,0,1] op_sel_hi:[1,0,0]
	v_mov_b32_e32 v170, v164
	v_mov_b32_e32 v171, v167
	v_pk_add_f32 v[172:173], v[170:171], v[168:169]
	v_pk_mul_f32 v[170:171], v[74:75], s[38:39] op_sel_hi:[1,0]
	v_mov_b32_e32 v193, v195
	;; [unrolled: 7-line block ×4, first 2 shown]
	v_pk_fma_f32 v[176:177], v[80:81], s[20:21], v[178:179] op_sel:[0,0,1] op_sel_hi:[1,0,0] neg_lo:[0,0,1] neg_hi:[0,0,1]
	v_pk_fma_f32 v[178:179], v[80:81], s[20:21], v[178:179] op_sel:[0,0,1] op_sel_hi:[1,0,0]
	v_mov_b32_e32 v190, v176
	v_mov_b32_e32 v191, v179
	v_pk_add_f32 v[188:189], v[190:191], v[188:189]
	ds_write2_b64 v184, v[186:187], v[188:189] offset0:4 offset1:5
	v_pk_mul_f32 v[186:187], v[58:59], s[22:23] op_sel_hi:[1,0]
	v_mov_b32_e32 v153, v155
	v_pk_fma_f32 v[188:189], v[50:51], s[20:21], v[186:187] op_sel:[0,0,1] op_sel_hi:[1,0,0] neg_lo:[0,0,1] neg_hi:[0,0,1]
	v_pk_fma_f32 v[186:187], v[50:51], s[20:21], v[186:187] op_sel:[0,0,1] op_sel_hi:[1,0,0]
	v_mov_b32_e32 v190, v188
	v_mov_b32_e32 v191, v187
	v_pk_add_f32 v[190:191], v[0:1], v[190:191]
	v_mov_b32_e32 v187, v189
	v_pk_add_f32 v[190:191], v[196:197], v[190:191]
	v_pk_mul_f32 v[196:197], v[62:63], s[18:19] op_sel_hi:[1,0]
	v_mov_b32_e32 v123, v121
	v_pk_fma_f32 v[198:199], v[56:57], s[10:11], v[196:197] op_sel:[0,0,1] op_sel_hi:[1,0,0] neg_lo:[0,0,1] neg_hi:[0,0,1]
	v_pk_fma_f32 v[196:197], v[56:57], s[10:11], v[196:197] op_sel:[0,0,1] op_sel_hi:[1,0,0]
	v_mov_b32_e32 v200, v198
	v_mov_b32_e32 v201, v197
	v_pk_add_f32 v[190:191], v[200:201], v[190:191]
	v_pk_mul_f32 v[200:201], v[66:67], s[26:27] op_sel_hi:[1,0]
	v_mov_b32_e32 v197, v199
	v_pk_fma_f32 v[202:203], v[64:65], s[24:25], v[200:201] op_sel:[0,0,1] op_sel_hi:[1,0,0] neg_lo:[0,0,1] neg_hi:[0,0,1]
	v_pk_fma_f32 v[200:201], v[64:65], s[24:25], v[200:201] op_sel:[0,0,1] op_sel_hi:[1,0,0]
	v_mov_b32_e32 v204, v202
	;; [unrolled: 7-line block ×6, first 2 shown]
	v_mov_b32_e32 v221, v217
	v_pk_add_f32 v[190:191], v[220:221], v[190:191]
	v_pk_mul_f32 v[220:221], v[58:59], s[26:27] op_sel_hi:[1,0]
	v_pk_mul_f32 v[58:59], v[58:59], s[36:37] op_sel_hi:[1,0]
	v_pk_fma_f32 v[222:223], v[50:51], s[24:25], v[220:221] op_sel:[0,0,1] op_sel_hi:[1,0,0] neg_lo:[0,0,1] neg_hi:[0,0,1]
	v_pk_fma_f32 v[220:221], v[50:51], s[24:25], v[220:221] op_sel:[0,0,1] op_sel_hi:[1,0,0]
	v_mov_b32_e32 v224, v222
	v_mov_b32_e32 v225, v221
	v_pk_add_f32 v[224:225], v[0:1], v[224:225]
	v_mov_b32_e32 v221, v223
	v_pk_add_f32 v[224:225], v[230:231], v[224:225]
	v_pk_mul_f32 v[230:231], v[62:63], s[28:29] op_sel_hi:[1,0]
	v_pk_mul_f32 v[62:63], v[62:63], s[26:27] op_sel_hi:[1,0]
	v_pk_fma_f32 v[232:233], v[56:57], s[12:13], v[230:231] op_sel:[0,0,1] op_sel_hi:[1,0,0] neg_lo:[0,0,1] neg_hi:[0,0,1]
	v_pk_fma_f32 v[230:231], v[56:57], s[12:13], v[230:231] op_sel:[0,0,1] op_sel_hi:[1,0,0]
	v_mov_b32_e32 v234, v232
	v_mov_b32_e32 v235, v231
	v_pk_add_f32 v[224:225], v[234:235], v[224:225]
	v_pk_mul_f32 v[234:235], v[66:67], s[50:51] op_sel_hi:[1,0]
	v_mov_b32_e32 v231, v233
	v_pk_fma_f32 v[236:237], v[64:65], s[20:21], v[234:235] op_sel:[0,0,1] op_sel_hi:[1,0,0] neg_lo:[0,0,1] neg_hi:[0,0,1]
	v_pk_fma_f32 v[234:235], v[64:65], s[20:21], v[234:235] op_sel:[0,0,1] op_sel_hi:[1,0,0]
	v_mov_b32_e32 v238, v236
	v_mov_b32_e32 v239, v235
	v_pk_add_f32 v[224:225], v[238:239], v[224:225]
	v_pk_mul_f32 v[238:239], v[70:71], s[18:19] op_sel_hi:[1,0]
	v_mov_b32_e32 v235, v237
	;; [unrolled: 7-line block ×5, first 2 shown]
	v_pk_fma_f32 v[252:253], v[80:81], s[14:15], v[250:251] op_sel:[0,0,1] op_sel_hi:[1,0,0] neg_lo:[0,0,1] neg_hi:[0,0,1]
	v_pk_fma_f32 v[250:251], v[80:81], s[14:15], v[250:251] op_sel:[0,0,1] op_sel_hi:[1,0,0]
	v_mov_b32_e32 v254, v252
	v_mov_b32_e32 v255, v251
	v_pk_add_f32 v[224:225], v[254:255], v[224:225]
	ds_write2_b64 v184, v[190:191], v[224:225] offset0:6 offset1:7
	v_pk_fma_f32 v[190:191], v[50:51], s[34:35], v[58:59] op_sel:[0,0,1] op_sel_hi:[1,0,0] neg_lo:[0,0,1] neg_hi:[0,0,1]
	v_pk_fma_f32 v[50:51], v[50:51], s[34:35], v[58:59] op_sel:[0,0,1] op_sel_hi:[1,0,0]
	v_pk_mul_f32 v[58:59], v[60:61], s[44:45] op_sel_hi:[1,0]
	v_mov_b32_e32 v251, v253
	v_pk_fma_f32 v[60:61], v[54:55], s[10:11], v[58:59] op_sel:[0,0,1] op_sel_hi:[1,0,0] neg_lo:[0,0,1] neg_hi:[0,0,1]
	v_pk_fma_f32 v[54:55], v[54:55], s[10:11], v[58:59] op_sel:[0,0,1] op_sel_hi:[1,0,0]
	v_mov_b32_e32 v58, v190
	v_mov_b32_e32 v59, v51
	v_pk_add_f32 v[58:59], v[0:1], v[58:59]
	v_mov_b32_e32 v224, v60
	v_mov_b32_e32 v225, v55
	v_pk_add_f32 v[58:59], v[224:225], v[58:59]
	v_pk_fma_f32 v[224:225], v[56:57], s[24:25], v[62:63] op_sel:[0,0,1] op_sel_hi:[1,0,0] neg_lo:[0,0,1] neg_hi:[0,0,1]
	v_pk_fma_f32 v[56:57], v[56:57], s[24:25], v[62:63] op_sel:[0,0,1] op_sel_hi:[1,0,0]
	v_mov_b32_e32 v62, v224
	v_mov_b32_e32 v63, v57
	v_pk_add_f32 v[58:59], v[62:63], v[58:59]
	v_pk_mul_f32 v[62:63], v[66:67], s[42:43] op_sel_hi:[1,0]
	v_mov_b32_e32 v51, v191
	v_pk_fma_f32 v[66:67], v[64:65], s[6:7], v[62:63] op_sel:[0,0,1] op_sel_hi:[1,0,0] neg_lo:[0,0,1] neg_hi:[0,0,1]
	v_pk_fma_f32 v[62:63], v[64:65], s[6:7], v[62:63] op_sel:[0,0,1] op_sel_hi:[1,0,0]
	v_mov_b32_e32 v64, v66
	v_mov_b32_e32 v65, v63
	v_pk_add_f32 v[58:59], v[64:65], v[58:59]
	v_pk_mul_f32 v[64:65], v[70:71], s[22:23] op_sel_hi:[1,0]
	v_mov_b32_e32 v55, v61
	v_pk_fma_f32 v[70:71], v[68:69], s[20:21], v[64:65] op_sel:[0,0,1] op_sel_hi:[1,0,0] neg_lo:[0,0,1] neg_hi:[0,0,1]
	v_pk_fma_f32 v[64:65], v[68:69], s[20:21], v[64:65] op_sel:[0,0,1] op_sel_hi:[1,0,0]
	v_mov_b32_e32 v68, v70
	v_mov_b32_e32 v69, v65
	v_pk_add_f32 v[58:59], v[68:69], v[58:59]
	v_pk_mul_f32 v[68:69], v[74:75], s[40:41] op_sel_hi:[1,0]
	v_pk_add_f32 v[50:51], v[0:1], v[50:51]
	v_pk_fma_f32 v[74:75], v[72:73], s[8:9], v[68:69] op_sel:[0,0,1] op_sel_hi:[1,0,0] neg_lo:[0,0,1] neg_hi:[0,0,1]
	v_pk_fma_f32 v[68:69], v[72:73], s[8:9], v[68:69] op_sel:[0,0,1] op_sel_hi:[1,0,0]
	v_mov_b32_e32 v72, v74
	v_mov_b32_e32 v73, v69
	v_pk_add_f32 v[58:59], v[72:73], v[58:59]
	v_pk_mul_f32 v[72:73], v[78:79], s[16:17] op_sel_hi:[1,0]
	v_pk_add_f32 v[50:51], v[54:55], v[50:51]
	v_mov_b32_e32 v57, v225
	v_pk_fma_f32 v[78:79], v[76:77], s[14:15], v[72:73] op_sel:[0,0,1] op_sel_hi:[1,0,0] neg_lo:[0,0,1] neg_hi:[0,0,1]
	v_pk_fma_f32 v[72:73], v[76:77], s[14:15], v[72:73] op_sel:[0,0,1] op_sel_hi:[1,0,0]
	v_pk_add_f32 v[50:51], v[56:57], v[50:51]
	v_mov_b32_e32 v63, v67
	v_mov_b32_e32 v76, v78
	;; [unrolled: 1-line block ×3, first 2 shown]
	v_pk_add_f32 v[50:51], v[62:63], v[50:51]
	v_mov_b32_e32 v65, v71
	v_pk_add_f32 v[58:59], v[76:77], v[58:59]
	v_pk_mul_f32 v[76:77], v[90:91], s[38:39] op_sel_hi:[1,0]
	v_pk_add_f32 v[50:51], v[64:65], v[50:51]
	v_mov_b32_e32 v69, v75
	v_pk_fma_f32 v[90:91], v[80:81], s[12:13], v[76:77] op_sel:[0,0,1] op_sel_hi:[1,0,0] neg_lo:[0,0,1] neg_hi:[0,0,1]
	v_pk_fma_f32 v[76:77], v[80:81], s[12:13], v[76:77] op_sel:[0,0,1] op_sel_hi:[1,0,0]
	v_pk_add_f32 v[50:51], v[68:69], v[50:51]
	v_mov_b32_e32 v73, v79
	v_mov_b32_e32 v80, v90
	;; [unrolled: 1-line block ×3, first 2 shown]
	v_pk_add_f32 v[50:51], v[72:73], v[50:51]
	v_mov_b32_e32 v77, v91
	v_pk_add_f32 v[58:59], v[80:81], v[58:59]
	v_pk_add_f32 v[50:51], v[76:77], v[50:51]
	ds_write2_b64 v184, v[58:59], v[50:51] offset0:8 offset1:9
	v_pk_add_f32 v[50:51], v[0:1], v[220:221]
	v_pk_add_f32 v[54:55], v[0:1], v[186:187]
	;; [unrolled: 1-line block ×14, first 2 shown]
	v_mov_b32_e32 v217, v219
	v_pk_add_f32 v[50:51], v[250:251], v[50:51]
	v_pk_add_f32 v[54:55], v[216:217], v[54:55]
	ds_write2_b64 v184, v[50:51], v[54:55] offset0:10 offset1:11
	v_pk_add_f32 v[50:51], v[0:1], v[148:149]
	v_pk_add_f32 v[54:55], v[0:1], v[118:119]
	;; [unrolled: 1-line block ×3, first 2 shown]
	v_mov_b32_e32 v159, v157
	v_pk_add_f32 v[54:55], v[122:123], v[54:55]
	v_mov_b32_e32 v127, v125
	v_pk_add_f32 v[50:51], v[158:159], v[50:51]
	;; [unrolled: 2-line block ×12, first 2 shown]
	v_pk_add_f32 v[54:55], v[146:147], v[54:55]
	v_mov_b32_e32 v85, v83
	v_mov_b32_e32 v5, v3
	ds_write2_b64 v184, v[50:51], v[54:55] offset0:12 offset1:13
	v_pk_add_f32 v[50:51], v[0:1], v[84:85]
	v_mov_b32_e32 v89, v87
	v_pk_add_f32 v[0:1], v[0:1], v[4:5]
	v_mov_b32_e32 v9, v7
	;; [unrolled: 2-line block ×14, first 2 shown]
	v_pk_add_f32 v[50:51], v[114:115], v[50:51]
	v_pk_add_f32 v[0:1], v[52:53], v[0:1]
	ds_write2_b64 v184, v[50:51], v[0:1] offset0:14 offset1:15
	ds_write_b64 v184, v[44:45] offset:128
.LBB0_19:
	s_or_b64 exec, exec, s[2:3]
	s_mov_b32 s2, 0xf0f1
	v_mul_u32_u24_sdwa v53, v46, s2 dst_sel:DWORD dst_unused:UNUSED_PAD src0_sel:WORD_0 src1_sel:DWORD
	v_lshrrev_b32_e32 v56, 20, v53
	v_mul_lo_u16_e32 v0, 17, v56
	v_mul_u32_u24_sdwa v64, v48, s2 dst_sel:DWORD dst_unused:UNUSED_PAD src0_sel:WORD_0 src1_sel:DWORD
	v_sub_u16_e32 v0, v46, v0
	v_lshrrev_b32_e32 v58, 20, v64
	v_lshlrev_b32_e32 v57, 3, v0
	v_mul_lo_u16_e32 v0, 17, v58
	v_sub_u16_e32 v0, v48, v0
	v_lshlrev_b32_e32 v59, 3, v0
	s_waitcnt lgkmcnt(0)
	s_barrier
	global_load_dwordx2 v[12:13], v59, s[4:5]
	global_load_dwordx2 v[14:15], v57, s[4:5]
	v_mul_u32_u24_sdwa v65, v36, s2 dst_sel:DWORD dst_unused:UNUSED_PAD src0_sel:WORD_0 src1_sel:DWORD
	v_lshrrev_b32_e32 v60, 20, v65
	v_mul_lo_u16_e32 v0, 17, v60
	v_sub_u16_e32 v0, v36, v0
	v_lshlrev_b32_e32 v61, 3, v0
	v_mul_u32_u24_sdwa v50, v38, s2 dst_sel:DWORD dst_unused:UNUSED_PAD src0_sel:WORD_0 src1_sel:DWORD
	global_load_dwordx2 v[16:17], v61, s[4:5]
	v_lshrrev_b32_e32 v62, 20, v50
	v_mul_lo_u16_e32 v0, 17, v62
	v_mul_u32_u24_sdwa v28, v42, s2 dst_sel:DWORD dst_unused:UNUSED_PAD src0_sel:WORD_0 src1_sel:DWORD
	v_sub_u16_e32 v0, v38, v0
	v_lshrrev_b32_e32 v66, 20, v28
	v_lshlrev_b32_e32 v63, 3, v0
	global_load_dwordx2 v[18:19], v63, s[4:5]
	v_mul_lo_u16_e32 v0, 17, v66
	v_sub_u16_e32 v0, v42, v0
	v_lshlrev_b32_e32 v67, 3, v0
	global_load_dwordx2 v[20:21], v67, s[4:5]
	v_mul_u32_u24_sdwa v29, v40, s2 dst_sel:DWORD dst_unused:UNUSED_PAD src0_sel:WORD_0 src1_sel:DWORD
	v_lshrrev_b32_e32 v68, 20, v29
	v_mul_lo_u16_e32 v0, 17, v68
	s_movk_i32 s3, 0xf1
	v_add_u16_e32 v52, 0x66, v32
	v_sub_u16_e32 v0, v40, v0
	v_lshlrev_b32_e32 v69, 3, v0
	global_load_dwordx2 v[22:23], v69, s[4:5]
	v_mul_lo_u16_sdwa v70, v52, s3 dst_sel:DWORD dst_unused:UNUSED_PAD src0_sel:BYTE_0 src1_sel:DWORD
	v_lshrrev_b16_e32 v71, 12, v70
	v_mul_lo_u16_e32 v0, 17, v71
	v_mul_lo_u16_sdwa v73, v32, s3 dst_sel:DWORD dst_unused:UNUSED_PAD src0_sel:BYTE_0 src1_sel:DWORD
	v_mov_b32_e32 v51, 3
	v_sub_u16_e32 v0, v52, v0
	v_lshrrev_b16_e32 v74, 12, v73
	v_lshlrev_b32_sdwa v72, v51, v0 dst_sel:DWORD dst_unused:UNUSED_PAD src0_sel:DWORD src1_sel:BYTE_0
	v_mul_lo_u16_e32 v0, 17, v74
	v_sub_u16_e32 v0, v32, v0
	global_load_dwordx2 v[24:25], v72, s[4:5]
	v_lshlrev_b32_sdwa v75, v51, v0 dst_sel:DWORD dst_unused:UNUSED_PAD src0_sel:DWORD src1_sel:BYTE_0
	global_load_dwordx2 v[26:27], v75, s[4:5]
	s_mov_b32 s6, 0x5040100
	ds_read2_b64 v[0:3], v183 offset0:48 offset1:150
	ds_read2_b64 v[4:7], v181 offset0:124 offset1:226
	s_movk_i32 s2, 0x110
	ds_read2_b64 v[8:11], v47 offset0:148 offset1:250
	ds_read_b64 v[30:31], v49
	ds_read_b64 v[54:55], v39
	v_perm_b32 v56, v58, v56, s6
	v_perm_b32 v60, v60, v62, s6
	v_pk_mul_lo_u16 v56, v56, s2 op_sel_hi:[1,0]
	v_mul_u32_u24_e32 v74, 0x110, v74
	v_perm_b32 v66, v66, v68, s6
	v_pk_mul_lo_u16 v60, v60, s2 op_sel_hi:[1,0]
	v_and_b32_e32 v68, 0xfff0, v56
	v_lshrrev_b32_e32 v56, 16, v56
	v_mul_u32_u24_e32 v71, 0x110, v71
	v_pk_mul_lo_u16 v58, v66, s2 op_sel_hi:[1,0]
	v_and_b32_e32 v66, 0xfff0, v60
	v_lshrrev_b32_e32 v60, 16, v60
	v_add3_u32 v74, 0, v74, v75
	v_add3_u32 v68, 0, v68, v57
	;; [unrolled: 1-line block ×5, first 2 shown]
	v_add_u32_e32 v76, 0x2400, v180
	v_and_b32_e32 v62, 0xfff0, v58
	v_lshrrev_b32_e32 v58, 16, v58
	v_add3_u32 v67, 0, v58, v67
	v_add3_u32 v69, 0, v62, v69
	;; [unrolled: 1-line block ×3, first 2 shown]
	v_lshrrev_b32_e32 v53, 21, v53
	s_movk_i32 s2, 0x220
	v_cmp_gt_u32_e32 vcc, 34, v32
	s_waitcnt vmcnt(7) lgkmcnt(2)
	v_pk_mul_f32 v[56:57], v[10:11], v[12:13] op_sel:[0,1]
	s_nop 0
	v_pk_fma_f32 v[60:61], v[10:11], v[12:13], v[56:57] op_sel:[0,0,1] op_sel_hi:[1,1,0] neg_lo:[0,0,1] neg_hi:[0,0,1]
	v_pk_fma_f32 v[10:11], v[10:11], v[12:13], v[56:57] op_sel:[0,0,1] op_sel_hi:[1,0,0]
	s_waitcnt vmcnt(6)
	v_pk_mul_f32 v[58:59], v[8:9], v[14:15] op_sel:[0,1]
	v_mov_b32_e32 v61, v11
	ds_read2_b64 v[10:13], v76 offset0:72 offset1:174
	s_waitcnt lgkmcnt(2)
	v_pk_add_f32 v[56:57], v[30:31], v[60:61] neg_lo:[0,1] neg_hi:[0,1]
	v_pk_fma_f32 v[60:61], v[8:9], v[14:15], v[58:59] op_sel:[0,0,1] op_sel_hi:[1,1,0] neg_lo:[0,0,1] neg_hi:[0,0,1]
	v_pk_fma_f32 v[8:9], v[8:9], v[14:15], v[58:59] op_sel:[0,0,1] op_sel_hi:[1,0,0]
	ds_read_b64 v[58:59], v41
	v_mov_b32_e32 v61, v9
	s_waitcnt lgkmcnt(2)
	v_pk_add_f32 v[8:9], v[54:55], v[60:61] neg_lo:[0,1] neg_hi:[0,1]
	v_pk_fma_f32 v[30:31], v[30:31], 2.0, v[56:57] op_sel_hi:[1,0,1] neg_lo:[0,0,1] neg_hi:[0,0,1]
	v_pk_fma_f32 v[14:15], v[54:55], 2.0, v[8:9] op_sel_hi:[1,0,1] neg_lo:[0,0,1] neg_hi:[0,0,1]
	s_waitcnt vmcnt(5) lgkmcnt(1)
	v_pk_mul_f32 v[54:55], v[12:13], v[16:17] op_sel:[0,1]
	s_nop 0
	v_pk_fma_f32 v[60:61], v[12:13], v[16:17], v[54:55] op_sel:[0,0,1] op_sel_hi:[1,1,0] neg_lo:[0,0,1] neg_hi:[0,0,1]
	v_pk_fma_f32 v[12:13], v[12:13], v[16:17], v[54:55] op_sel:[0,0,1] op_sel_hi:[1,0,0]
	s_nop 0
	v_mov_b32_e32 v61, v13
	ds_read_b64 v[12:13], v37
	s_waitcnt lgkmcnt(1)
	v_pk_add_f32 v[16:17], v[58:59], v[60:61] neg_lo:[0,1] neg_hi:[0,1]
	s_nop 0
	v_pk_fma_f32 v[54:55], v[58:59], 2.0, v[16:17] op_sel_hi:[1,0,1] neg_lo:[0,0,1] neg_hi:[0,0,1]
	s_waitcnt vmcnt(4)
	v_pk_mul_f32 v[58:59], v[10:11], v[18:19] op_sel:[0,1]
	s_nop 0
	v_pk_fma_f32 v[60:61], v[10:11], v[18:19], v[58:59] op_sel:[0,0,1] op_sel_hi:[1,1,0] neg_lo:[0,0,1] neg_hi:[0,0,1]
	v_pk_fma_f32 v[10:11], v[10:11], v[18:19], v[58:59] op_sel:[0,0,1] op_sel_hi:[1,0,0]
	s_waitcnt vmcnt(3)
	v_pk_mul_f32 v[58:59], v[20:21], v[6:7] op_sel:[0,1]
	v_mov_b32_e32 v61, v11
	ds_read_b64 v[10:11], v43
	s_waitcnt lgkmcnt(1)
	v_pk_add_f32 v[18:19], v[12:13], v[60:61] neg_lo:[0,1] neg_hi:[0,1]
	v_pk_fma_f32 v[60:61], v[20:21], v[6:7], v[58:59] op_sel:[0,0,1] op_sel_hi:[1,1,0] neg_lo:[0,0,1] neg_hi:[0,0,1]
	v_pk_fma_f32 v[6:7], v[20:21], v[6:7], v[58:59] op_sel:[0,0,1] op_sel_hi:[1,0,0]
	s_waitcnt vmcnt(2)
	v_pk_mul_f32 v[58:59], v[22:23], v[4:5] op_sel:[0,1]
	v_mov_b32_e32 v61, v7
	ds_read_b64 v[6:7], v33
	s_waitcnt lgkmcnt(1)
	v_pk_add_f32 v[20:21], v[10:11], v[60:61] neg_lo:[0,1] neg_hi:[0,1]
	v_pk_fma_f32 v[60:61], v[22:23], v[4:5], v[58:59] op_sel:[0,0,1] op_sel_hi:[1,1,0] neg_lo:[0,0,1] neg_hi:[0,0,1]
	v_pk_fma_f32 v[4:5], v[22:23], v[4:5], v[58:59] op_sel:[0,0,1] op_sel_hi:[1,0,0]
	v_pk_fma_f32 v[12:13], v[12:13], 2.0, v[18:19] op_sel_hi:[1,0,1] neg_lo:[0,0,1] neg_hi:[0,0,1]
	v_mov_b32_e32 v61, v5
	s_waitcnt lgkmcnt(0)
	v_pk_add_f32 v[22:23], v[6:7], v[60:61] neg_lo:[0,1] neg_hi:[0,1]
	s_waitcnt vmcnt(1)
	v_pk_mul_f32 v[60:61], v[24:25], v[2:3] op_sel:[0,1]
	v_pk_fma_f32 v[58:59], v[6:7], 2.0, v[22:23] op_sel_hi:[1,0,1] neg_lo:[0,0,1] neg_hi:[0,0,1]
	ds_read2_b64 v[4:7], v180 offset1:102
	v_pk_fma_f32 v[62:63], v[24:25], v[2:3], v[60:61] op_sel:[0,0,1] op_sel_hi:[1,1,0] neg_lo:[0,0,1] neg_hi:[0,0,1]
	v_pk_fma_f32 v[2:3], v[24:25], v[2:3], v[60:61] op_sel:[0,0,1] op_sel_hi:[1,0,0]
	s_waitcnt vmcnt(0)
	v_pk_mul_f32 v[24:25], v[26:27], v[0:1] op_sel:[0,1]
	v_mov_b32_e32 v63, v3
	v_pk_fma_f32 v[60:61], v[26:27], v[0:1], v[24:25] op_sel:[0,0,1] op_sel_hi:[1,1,0] neg_lo:[0,0,1] neg_hi:[0,0,1]
	v_pk_fma_f32 v[0:1], v[26:27], v[0:1], v[24:25] op_sel:[0,0,1] op_sel_hi:[1,0,0]
	s_waitcnt lgkmcnt(0)
	v_pk_add_f32 v[2:3], v[6:7], v[62:63] neg_lo:[0,1] neg_hi:[0,1]
	v_mov_b32_e32 v61, v1
	v_pk_add_f32 v[0:1], v[4:5], v[60:61] neg_lo:[0,1] neg_hi:[0,1]
	v_pk_fma_f32 v[10:11], v[10:11], 2.0, v[20:21] op_sel_hi:[1,0,1] neg_lo:[0,0,1] neg_hi:[0,0,1]
	v_pk_fma_f32 v[4:5], v[4:5], 2.0, v[0:1] op_sel_hi:[1,0,1] neg_lo:[0,0,1] neg_hi:[0,0,1]
	;; [unrolled: 1-line block ×3, first 2 shown]
	s_barrier
	ds_write2_b64 v74, v[4:5], v[0:1] offset1:17
	ds_write2_b64 v71, v[6:7], v[2:3] offset1:17
	ds_write2_b64 v69, v[58:59], v[22:23] offset1:17
	ds_write2_b64 v67, v[10:11], v[20:21] offset1:17
	ds_write2_b64 v66, v[12:13], v[18:19] offset1:17
	ds_write2_b64 v72, v[54:55], v[16:17] offset1:17
	ds_write2_b64 v68, v[14:15], v[8:9] offset1:17
	ds_write2_b64 v75, v[30:31], v[56:57] offset1:17
	v_lshrrev_b32_e32 v56, 21, v64
	v_mul_lo_u16_e32 v0, 34, v56
	v_sub_u16_e32 v0, v48, v0
	v_lshlrev_b32_e32 v57, 3, v0
	s_waitcnt lgkmcnt(0)
	s_barrier
	global_load_dwordx2 v[12:13], v57, s[4:5] offset:136
	v_mul_lo_u16_e32 v0, 34, v53
	v_sub_u16_e32 v0, v46, v0
	v_lshrrev_b32_e32 v58, 21, v65
	v_lshlrev_b32_e32 v46, 3, v0
	v_mul_lo_u16_e32 v0, 34, v58
	v_sub_u16_e32 v0, v36, v0
	v_lshrrev_b32_e32 v60, 21, v50
	v_lshlrev_b32_e32 v59, 3, v0
	global_load_dwordx2 v[18:19], v59, s[4:5] offset:136
	v_mul_lo_u16_e32 v0, 34, v60
	v_sub_u16_e32 v0, v38, v0
	v_lshlrev_b32_e32 v61, 3, v0
	global_load_dwordx2 v[20:21], v61, s[4:5] offset:136
	global_load_dwordx2 v[16:17], v46, s[4:5] offset:136
	v_lshrrev_b32_e32 v62, 21, v28
	v_mul_lo_u16_e32 v0, 34, v62
	v_sub_u16_e32 v0, v42, v0
	v_lshlrev_b32_e32 v63, 3, v0
	global_load_dwordx2 v[22:23], v63, s[4:5] offset:136
	v_lshrrev_b32_e32 v64, 21, v29
	v_mul_lo_u16_e32 v0, 34, v64
	v_sub_u16_e32 v0, v40, v0
	v_lshlrev_b32_e32 v65, 3, v0
	global_load_dwordx2 v[26:27], v65, s[4:5] offset:136
	v_lshrrev_b16_e32 v66, 13, v70
	v_mul_lo_u16_e32 v0, 34, v66
	v_sub_u16_e32 v0, v52, v0
	v_lshrrev_b16_e32 v68, 13, v73
	v_lshlrev_b32_sdwa v67, v51, v0 dst_sel:DWORD dst_unused:UNUSED_PAD src0_sel:DWORD src1_sel:BYTE_0
	global_load_dwordx2 v[30:31], v67, s[4:5] offset:136
	v_mul_lo_u16_e32 v0, 34, v68
	v_sub_u16_e32 v0, v32, v0
	v_lshlrev_b32_sdwa v69, v51, v0 dst_sel:DWORD dst_unused:UNUSED_PAD src0_sel:DWORD src1_sel:BYTE_0
	global_load_dwordx2 v[54:55], v69, s[4:5] offset:136
	ds_read2_b64 v[0:3], v47 offset0:148 offset1:250
	ds_read2_b64 v[4:7], v183 offset0:48 offset1:150
	;; [unrolled: 1-line block ×3, first 2 shown]
	ds_read_b64 v[48:49], v49
	s_waitcnt vmcnt(7) lgkmcnt(3)
	v_pk_mul_f32 v[14:15], v[2:3], v[12:13] op_sel:[0,1]
	s_nop 0
	v_pk_fma_f32 v[24:25], v[2:3], v[12:13], v[14:15] op_sel:[0,0,1] op_sel_hi:[1,1,0] neg_lo:[0,0,1] neg_hi:[0,0,1]
	v_pk_fma_f32 v[2:3], v[2:3], v[12:13], v[14:15] op_sel:[0,0,1] op_sel_hi:[1,0,0]
	v_mul_u32_u24_e32 v12, 0x220, v68
	v_add3_u32 v68, 0, v12, v69
	v_mul_u32_u24_e32 v12, 0x220, v66
	v_add3_u32 v66, 0, v12, v67
	v_perm_b32 v12, v62, v64, s6
	v_pk_mul_lo_u16 v12, v12, s2 op_sel_hi:[1,0]
	v_mov_b32_e32 v25, v3
	ds_read_b64 v[2:3], v39
	v_and_b32_e32 v13, 0xffe0, v12
	v_lshrrev_b32_e32 v12, 16, v12
	v_add3_u32 v63, 0, v12, v63
	v_perm_b32 v12, v58, v60, s6
	v_pk_mul_lo_u16 v12, v12, s2 op_sel_hi:[1,0]
	v_add3_u32 v62, 0, v13, v65
	v_and_b32_e32 v13, 0xffe0, v12
	v_lshrrev_b32_e32 v12, 16, v12
	v_add3_u32 v65, 0, v12, v59
	v_perm_b32 v12, v56, v53, s6
	v_pk_mul_lo_u16 v12, v12, s2 op_sel_hi:[1,0]
	v_add3_u32 v64, 0, v13, v61
	v_and_b32_e32 v13, 0xffe0, v12
	v_lshrrev_b32_e32 v12, 16, v12
	v_add3_u32 v53, 0, v12, v57
	s_waitcnt vmcnt(4)
	v_pk_mul_f32 v[56:57], v[0:1], v[16:17] op_sel:[0,1]
	v_add3_u32 v46, 0, v13, v46
	v_pk_fma_f32 v[58:59], v[0:1], v[16:17], v[56:57] op_sel:[0,0,1] op_sel_hi:[1,1,0] neg_lo:[0,0,1] neg_hi:[0,0,1]
	ds_read2_b64 v[12:15], v76 offset0:72 offset1:174
	v_pk_fma_f32 v[0:1], v[0:1], v[16:17], v[56:57] op_sel:[0,0,1] op_sel_hi:[1,0,0]
	s_waitcnt lgkmcnt(2)
	v_pk_add_f32 v[24:25], v[48:49], v[24:25] neg_lo:[0,1] neg_hi:[0,1]
	v_mov_b32_e32 v59, v1
	s_waitcnt lgkmcnt(1)
	v_pk_add_f32 v[16:17], v[2:3], v[58:59] neg_lo:[0,1] neg_hi:[0,1]
	s_waitcnt lgkmcnt(0)
	v_pk_mul_f32 v[0:1], v[14:15], v[18:19] op_sel:[0,1]
	v_pk_fma_f32 v[56:57], v[2:3], 2.0, v[16:17] op_sel_hi:[1,0,1] neg_lo:[0,0,1] neg_hi:[0,0,1]
	ds_read_b64 v[2:3], v41
	v_pk_fma_f32 v[58:59], v[14:15], v[18:19], v[0:1] op_sel:[0,0,1] op_sel_hi:[1,1,0] neg_lo:[0,0,1] neg_hi:[0,0,1]
	v_pk_fma_f32 v[0:1], v[14:15], v[18:19], v[0:1] op_sel:[0,0,1] op_sel_hi:[1,0,0]
	v_pk_fma_f32 v[48:49], v[48:49], 2.0, v[24:25] op_sel_hi:[1,0,1] neg_lo:[0,0,1] neg_hi:[0,0,1]
	v_mov_b32_e32 v59, v1
	ds_read_b64 v[0:1], v37
	s_waitcnt lgkmcnt(1)
	v_pk_add_f32 v[14:15], v[2:3], v[58:59] neg_lo:[0,1] neg_hi:[0,1]
	s_nop 0
	v_pk_fma_f32 v[18:19], v[2:3], 2.0, v[14:15] op_sel_hi:[1,0,1] neg_lo:[0,0,1] neg_hi:[0,0,1]
	v_pk_mul_f32 v[2:3], v[12:13], v[20:21] op_sel:[0,1]
	s_nop 0
	v_pk_fma_f32 v[58:59], v[12:13], v[20:21], v[2:3] op_sel:[0,0,1] op_sel_hi:[1,1,0] neg_lo:[0,0,1] neg_hi:[0,0,1]
	v_pk_fma_f32 v[2:3], v[12:13], v[20:21], v[2:3] op_sel:[0,0,1] op_sel_hi:[1,0,0]
	s_nop 0
	v_mov_b32_e32 v59, v3
	ds_read_b64 v[2:3], v43
	s_waitcnt lgkmcnt(1)
	v_pk_add_f32 v[12:13], v[0:1], v[58:59] neg_lo:[0,1] neg_hi:[0,1]
	s_nop 0
	v_pk_fma_f32 v[20:21], v[0:1], 2.0, v[12:13] op_sel_hi:[1,0,1] neg_lo:[0,0,1] neg_hi:[0,0,1]
	s_waitcnt vmcnt(3)
	v_pk_mul_f32 v[0:1], v[22:23], v[10:11] op_sel:[0,1]
	s_nop 0
	v_pk_fma_f32 v[58:59], v[22:23], v[10:11], v[0:1] op_sel:[0,0,1] op_sel_hi:[1,1,0] neg_lo:[0,0,1] neg_hi:[0,0,1]
	v_pk_fma_f32 v[0:1], v[22:23], v[10:11], v[0:1] op_sel:[0,0,1] op_sel_hi:[1,0,0]
	s_nop 0
	v_mov_b32_e32 v59, v1
	ds_read_b64 v[0:1], v33
	s_waitcnt lgkmcnt(1)
	v_pk_add_f32 v[10:11], v[2:3], v[58:59] neg_lo:[0,1] neg_hi:[0,1]
	s_nop 0
	v_pk_fma_f32 v[22:23], v[2:3], 2.0, v[10:11] op_sel_hi:[1,0,1] neg_lo:[0,0,1] neg_hi:[0,0,1]
	s_waitcnt vmcnt(2)
	v_pk_mul_f32 v[2:3], v[26:27], v[8:9] op_sel:[0,1]
	s_nop 0
	v_pk_fma_f32 v[58:59], v[26:27], v[8:9], v[2:3] op_sel:[0,0,1] op_sel_hi:[1,1,0] neg_lo:[0,0,1] neg_hi:[0,0,1]
	v_pk_fma_f32 v[2:3], v[26:27], v[8:9], v[2:3] op_sel:[0,0,1] op_sel_hi:[1,0,0]
	s_nop 0
	v_mov_b32_e32 v59, v3
	s_waitcnt lgkmcnt(0)
	v_pk_add_f32 v[8:9], v[0:1], v[58:59] neg_lo:[0,1] neg_hi:[0,1]
	s_waitcnt vmcnt(1)
	v_pk_mul_f32 v[58:59], v[30:31], v[6:7] op_sel:[0,1]
	v_pk_fma_f32 v[26:27], v[0:1], 2.0, v[8:9] op_sel_hi:[1,0,1] neg_lo:[0,0,1] neg_hi:[0,0,1]
	ds_read2_b64 v[0:3], v180 offset1:102
	v_pk_fma_f32 v[60:61], v[30:31], v[6:7], v[58:59] op_sel:[0,0,1] op_sel_hi:[1,1,0] neg_lo:[0,0,1] neg_hi:[0,0,1]
	v_pk_fma_f32 v[6:7], v[30:31], v[6:7], v[58:59] op_sel:[0,0,1] op_sel_hi:[1,0,0]
	s_waitcnt vmcnt(0)
	v_pk_mul_f32 v[30:31], v[54:55], v[4:5] op_sel:[0,1]
	v_mov_b32_e32 v61, v7
	v_pk_fma_f32 v[58:59], v[54:55], v[4:5], v[30:31] op_sel:[0,0,1] op_sel_hi:[1,1,0] neg_lo:[0,0,1] neg_hi:[0,0,1]
	v_pk_fma_f32 v[4:5], v[54:55], v[4:5], v[30:31] op_sel:[0,0,1] op_sel_hi:[1,0,0]
	s_waitcnt lgkmcnt(0)
	v_pk_add_f32 v[6:7], v[2:3], v[60:61] neg_lo:[0,1] neg_hi:[0,1]
	v_mov_b32_e32 v59, v5
	v_pk_add_f32 v[4:5], v[0:1], v[58:59] neg_lo:[0,1] neg_hi:[0,1]
	v_pk_fma_f32 v[2:3], v[2:3], 2.0, v[6:7] op_sel_hi:[1,0,1] neg_lo:[0,0,1] neg_hi:[0,0,1]
	v_pk_fma_f32 v[0:1], v[0:1], 2.0, v[4:5] op_sel_hi:[1,0,1] neg_lo:[0,0,1] neg_hi:[0,0,1]
	s_barrier
	ds_write2_b64 v68, v[0:1], v[4:5] offset1:34
	ds_write2_b64 v66, v[2:3], v[6:7] offset1:34
	;; [unrolled: 1-line block ×8, first 2 shown]
	v_add_u32_e32 v4, 0x1400, v180
	s_waitcnt lgkmcnt(0)
	s_barrier
	ds_read2_b64 v[8:11], v180 offset1:102
	ds_read2_b64 v[12:15], v182 offset0:32 offset1:134
	ds_read2_b64 v[0:3], v181 offset0:56 offset1:192
	;; [unrolled: 1-line block ×5, first 2 shown]
	ds_read_b64 v[48:49], v33
	ds_read_b64 v[46:47], v43
	;; [unrolled: 1-line block ×3, first 2 shown]
                                        ; implicit-def: $vgpr26
	s_and_saveexec_b64 s[2:3], vcc
	s_cbranch_execz .LBB0_21
; %bb.20:
	ds_read_b64 v[44:45], v180 offset:8432
	ds_read_b64 v[24:25], v41
	ds_read_b64 v[26:27], v180 offset:12784
.LBB0_21:
	s_or_b64 exec, exec, s[2:3]
	v_lshrrev_b32_e32 v68, 22, v28
	v_lshrrev_b32_e32 v66, 22, v29
	v_mul_lo_u16_e32 v28, 0x44, v68
	v_mul_lo_u16_e32 v29, 0x44, v66
	v_sub_u16_e32 v69, v42, v28
	v_sub_u16_e32 v67, v40, v29
	v_lshlrev_b32_e32 v28, 4, v69
	global_load_dwordx4 v[40:43], v28, s[4:5] offset:408
	v_lshlrev_b32_e32 v28, 4, v67
	s_movk_i32 s2, 0x44
	global_load_dwordx4 v[54:57], v28, s[4:5] offset:408
	v_add_u32_e32 v28, 0xffffffbc, v32
	v_cmp_gt_u32_e64 s[2:3], s2, v32
	v_mov_b32_e32 v29, 0
	v_lshrrev_b32_e32 v74, 22, v50
	v_cndmask_b32_e64 v70, v28, v32, s[2:3]
	s_movk_i32 s2, 0x79
	v_mul_lo_u16_sdwa v53, v52, s2 dst_sel:DWORD dst_unused:UNUSED_PAD src0_sel:BYTE_0 src1_sel:DWORD
	v_lshrrev_b16_e32 v71, 13, v53
	v_mul_lo_u16_e32 v53, 0x44, v71
	v_sub_u16_e32 v72, v52, v53
	v_mov_b32_e32 v52, 4
	v_lshlrev_b32_e32 v28, 1, v70
	v_lshlrev_b32_sdwa v52, v52, v72 dst_sel:DWORD dst_unused:UNUSED_PAD src0_sel:DWORD src1_sel:BYTE_0
	global_load_dwordx4 v[58:61], v52, s[4:5] offset:408
	v_lshl_add_u64 v[52:53], v[28:29], 3, s[4:5]
	global_load_dwordx4 v[62:65], v[52:53], off offset:408
	s_movk_i32 s2, 0x43
	v_mul_lo_u16_e32 v50, 0x44, v74
	v_mov_b32_e32 v28, 0x660
	v_cmp_lt_u32_e64 s[2:3], s2, v32
	v_sub_u16_e32 v38, v38, v50
	v_lshlrev_b32_e32 v50, 3, v70
	v_cndmask_b32_e64 v28, 0, v28, s[2:3]
	v_lshlrev_b32_e32 v53, 4, v38
	v_perm_b32 v52, v68, v66, s6
	v_add3_u32 v75, 0, v28, v50
	v_mul_u32_u24_e32 v28, 0x660, v71
	v_lshlrev_b32_e32 v70, 3, v67
	v_lshlrev_b32_e32 v71, 3, v69
	global_load_dwordx4 v[66:69], v53, s[4:5] offset:408
	s_movk_i32 s7, 0x660
	v_pk_mul_lo_u16 v52, v52, s7 op_sel_hi:[1,0]
	s_mov_b32 s2, 0x3f5db3d7
	v_and_b32_e32 v50, 0xffe0, v52
	v_lshrrev_b32_e32 v52, 16, v52
	v_add3_u32 v76, 0, v50, v70
	v_lshlrev_b32_sdwa v50, v51, v72 dst_sel:DWORD dst_unused:UNUSED_PAD src0_sel:DWORD src1_sel:BYTE_0
	v_add3_u32 v77, 0, v52, v71
	v_add3_u32 v78, 0, v28, v50
	s_waitcnt lgkmcnt(0)
	s_barrier
	s_waitcnt vmcnt(4)
	v_pk_mul_f32 v[50:51], v[40:41], v[22:23] op_sel:[0,1]
	v_mov_b32_e32 v28, v43
	v_pk_fma_f32 v[72:73], v[40:41], v[22:23], v[50:51] op_sel:[0,0,1] op_sel_hi:[1,1,0] neg_lo:[0,0,1] neg_hi:[0,0,1]
	s_waitcnt vmcnt(3)
	v_pk_mul_f32 v[52:53], v[54:55], v[20:21] op_sel:[0,1]
	v_pk_mul_f32 v[70:71], v[56:57], v[18:19] op_sel:[0,1]
	v_pk_fma_f32 v[22:23], v[40:41], v[22:23], v[50:51] op_sel:[0,0,1] op_sel_hi:[1,0,0]
	v_pk_mul_f32 v[40:41], v[4:5], v[28:29] op_sel_hi:[1,0]
	v_pk_fma_f32 v[50:51], v[54:55], v[20:21], v[52:53] op_sel:[0,0,1] op_sel_hi:[1,1,0] neg_lo:[0,0,1] neg_hi:[0,0,1]
	v_pk_fma_f32 v[20:21], v[54:55], v[20:21], v[52:53] op_sel:[0,0,1] op_sel_hi:[1,0,0]
	v_pk_fma_f32 v[52:53], v[56:57], v[18:19], v[70:71] op_sel:[0,0,1] op_sel_hi:[1,1,0] neg_lo:[0,0,1] neg_hi:[0,0,1]
	v_pk_fma_f32 v[18:19], v[56:57], v[18:19], v[70:71] op_sel:[0,0,1] op_sel_hi:[1,0,0]
	v_mov_b32_e32 v73, v23
	v_pk_fma_f32 v[22:23], v[4:5], v[42:43], v[40:41] op_sel:[0,0,1] op_sel_hi:[1,1,0] neg_lo:[0,0,1] neg_hi:[0,0,1]
	v_pk_fma_f32 v[4:5], v[4:5], v[42:43], v[40:41] op_sel:[0,0,1] op_sel_hi:[1,0,0]
	v_mov_b32_e32 v51, v21
	v_mov_b32_e32 v53, v19
	v_pk_add_f32 v[54:55], v[48:49], v[50:51]
	s_waitcnt vmcnt(2)
	v_pk_mul_f32 v[18:19], v[58:59], v[14:15] op_sel:[0,1]
	v_pk_mul_f32 v[20:21], v[60:61], v[16:17] op_sel:[0,1]
	s_waitcnt vmcnt(1)
	v_pk_mul_f32 v[40:41], v[62:63], v[12:13] op_sel:[0,1]
	v_pk_mul_f32 v[42:43], v[64:65], v[2:3] op_sel:[0,1]
	v_pk_fma_f32 v[56:57], v[58:59], v[14:15], v[18:19] op_sel:[0,0,1] op_sel_hi:[1,1,0] neg_lo:[0,0,1] neg_hi:[0,0,1]
	v_pk_fma_f32 v[14:15], v[58:59], v[14:15], v[18:19] op_sel:[0,0,1] op_sel_hi:[1,0,0]
	v_pk_fma_f32 v[18:19], v[60:61], v[16:17], v[20:21] op_sel:[0,0,1] op_sel_hi:[1,1,0] neg_lo:[0,0,1] neg_hi:[0,0,1]
	v_pk_fma_f32 v[16:17], v[60:61], v[16:17], v[20:21] op_sel:[0,0,1] op_sel_hi:[1,0,0]
	;; [unrolled: 2-line block ×4, first 2 shown]
	v_mov_b32_e32 v21, v13
	v_mov_b32_e32 v41, v3
	;; [unrolled: 1-line block ×3, first 2 shown]
	v_pk_add_f32 v[14:15], v[20:21], v[40:41]
	v_pk_add_f32 v[12:13], v[8:9], v[20:21]
	v_pk_fma_f32 v[8:9], v[14:15], 0.5, v[8:9] op_sel_hi:[1,0,1] neg_lo:[1,0,0] neg_hi:[1,0,0]
	v_pk_add_f32 v[14:15], v[20:21], v[40:41] neg_lo:[0,1] neg_hi:[0,1]
	v_mov_b32_e32 v19, v17
	v_pk_mul_f32 v[14:15], v[14:15], s[2:3] op_sel_hi:[1,0]
	v_pk_add_f32 v[2:3], v[10:11], v[56:57]
	v_pk_add_f32 v[16:17], v[8:9], v[14:15] op_sel:[0,1] op_sel_hi:[1,0]
	v_pk_add_f32 v[8:9], v[8:9], v[14:15] op_sel:[0,1] op_sel_hi:[1,0] neg_lo:[0,1] neg_hi:[0,1]
	v_pk_add_f32 v[12:13], v[12:13], v[40:41]
	v_mov_b32_e32 v15, v9
	v_mov_b32_e32 v9, v17
	ds_write_b64 v75, v[8:9] offset:1088
	v_pk_add_f32 v[8:9], v[56:57], v[18:19]
	v_mov_b32_e32 v14, v16
	v_pk_fma_f32 v[8:9], v[8:9], 0.5, v[10:11] op_sel_hi:[1,0,1] neg_lo:[1,0,0] neg_hi:[1,0,0]
	v_pk_add_f32 v[10:11], v[56:57], v[18:19] neg_lo:[0,1] neg_hi:[0,1]
	ds_write2_b64 v75, v[12:13], v[14:15] offset1:68
	v_pk_mul_f32 v[10:11], v[10:11], s[2:3] op_sel_hi:[1,0]
	v_pk_add_f32 v[2:3], v[2:3], v[18:19]
	v_pk_add_f32 v[12:13], v[8:9], v[10:11] op_sel:[0,1] op_sel_hi:[1,0]
	v_pk_add_f32 v[8:9], v[8:9], v[10:11] op_sel:[0,1] op_sel_hi:[1,0] neg_lo:[0,1] neg_hi:[0,1]
	v_mov_b32_e32 v10, v12
	v_mov_b32_e32 v11, v9
	;; [unrolled: 1-line block ×3, first 2 shown]
	ds_write2_b64 v78, v[2:3], v[10:11] offset1:68
	ds_write_b64 v78, v[8:9] offset:1088
	v_pk_add_f32 v[2:3], v[50:51], v[52:53]
	v_pk_add_f32 v[8:9], v[50:51], v[52:53] neg_lo:[0,1] neg_hi:[0,1]
	v_pk_fma_f32 v[2:3], v[2:3], 0.5, v[48:49] op_sel_hi:[1,0,1] neg_lo:[1,0,0] neg_hi:[1,0,0]
	v_pk_mul_f32 v[8:9], v[8:9], s[2:3] op_sel_hi:[1,0]
	v_mov_b32_e32 v23, v5
	v_pk_add_f32 v[10:11], v[2:3], v[8:9] op_sel:[0,1] op_sel_hi:[1,0]
	v_pk_add_f32 v[2:3], v[2:3], v[8:9] op_sel:[0,1] op_sel_hi:[1,0] neg_lo:[0,1] neg_hi:[0,1]
	v_pk_add_f32 v[42:43], v[54:55], v[52:53]
	v_mov_b32_e32 v8, v10
	v_mov_b32_e32 v9, v3
	;; [unrolled: 1-line block ×3, first 2 shown]
	ds_write2_b64 v76, v[42:43], v[8:9] offset1:68
	ds_write_b64 v76, v[2:3] offset:1088
	v_pk_add_f32 v[2:3], v[72:73], v[22:23]
	v_pk_add_f32 v[8:9], v[72:73], v[22:23] neg_lo:[0,1] neg_hi:[0,1]
	v_pk_fma_f32 v[2:3], v[2:3], 0.5, v[46:47] op_sel_hi:[1,0,1] neg_lo:[1,0,0] neg_hi:[1,0,0]
	v_pk_mul_f32 v[8:9], v[8:9], s[2:3] op_sel_hi:[1,0]
	v_pk_add_f32 v[4:5], v[46:47], v[72:73]
	v_pk_add_f32 v[10:11], v[2:3], v[8:9] op_sel:[0,1] op_sel_hi:[1,0]
	v_pk_add_f32 v[2:3], v[2:3], v[8:9] op_sel:[0,1] op_sel_hi:[1,0] neg_lo:[0,1] neg_hi:[0,1]
	v_pk_add_f32 v[4:5], v[4:5], v[22:23]
	v_mov_b32_e32 v9, v3
	v_mov_b32_e32 v3, v11
	;; [unrolled: 1-line block ×3, first 2 shown]
	ds_write_b64 v77, v[2:3] offset:1088
	v_mul_u32_u24_e32 v2, 0x660, v74
	v_lshlrev_b32_e32 v3, 3, v38
	ds_write2_b64 v77, v[4:5], v[8:9] offset1:68
	v_add3_u32 v8, 0, v2, v3
	s_waitcnt vmcnt(0)
	v_pk_mul_f32 v[2:3], v[0:1], v[66:67] op_sel:[0,1]
	s_nop 0
	v_pk_fma_f32 v[4:5], v[0:1], v[66:67], v[2:3] op_sel:[0,0,1] op_sel_hi:[1,1,0] neg_lo:[0,0,1] neg_hi:[0,0,1]
	v_pk_fma_f32 v[0:1], v[0:1], v[66:67], v[2:3] op_sel:[0,0,1] op_sel_hi:[1,0,0]
	s_nop 0
	v_mov_b32_e32 v0, v69
	v_mov_b32_e32 v5, v1
	v_pk_mul_f32 v[0:1], v[6:7], v[0:1] op_sel_hi:[1,0]
	s_nop 0
	v_pk_fma_f32 v[2:3], v[6:7], v[68:69], v[0:1] op_sel:[0,0,1] op_sel_hi:[1,1,0] neg_lo:[0,0,1] neg_hi:[0,0,1]
	v_pk_fma_f32 v[0:1], v[6:7], v[68:69], v[0:1] op_sel:[0,0,1] op_sel_hi:[1,0,0]
	s_nop 0
	v_mov_b32_e32 v3, v1
	v_pk_add_f32 v[0:1], v[30:31], v[4:5]
	v_pk_add_f32 v[6:7], v[4:5], v[2:3]
	;; [unrolled: 1-line block ×3, first 2 shown]
	v_pk_add_f32 v[2:3], v[4:5], v[2:3] neg_lo:[0,1] neg_hi:[0,1]
	v_pk_fma_f32 v[6:7], v[6:7], 0.5, v[30:31] op_sel_hi:[1,0,1] neg_lo:[1,0,0] neg_hi:[1,0,0]
	v_pk_mul_f32 v[2:3], v[2:3], s[2:3] op_sel_hi:[1,0]
	s_nop 0
	v_pk_add_f32 v[4:5], v[6:7], v[2:3] op_sel:[0,1] op_sel_hi:[1,0]
	v_pk_add_f32 v[2:3], v[6:7], v[2:3] op_sel:[0,1] op_sel_hi:[1,0] neg_lo:[0,1] neg_hi:[0,1]
	v_mov_b32_e32 v6, v4
	v_mov_b32_e32 v7, v3
	;; [unrolled: 1-line block ×3, first 2 shown]
	ds_write2_b64 v8, v[0:1], v[6:7] offset1:68
	ds_write_b64 v8, v[2:3] offset:1088
	s_and_saveexec_b64 s[6:7], vcc
	s_cbranch_execz .LBB0_23
; %bb.22:
	s_mov_b32 s3, 0xf0f1
	v_mul_u32_u24_sdwa v0, v36, s3 dst_sel:DWORD dst_unused:UNUSED_PAD src0_sel:WORD_0 src1_sel:DWORD
	v_lshrrev_b32_e32 v0, 22, v0
	v_mul_lo_u16_e32 v0, 0x44, v0
	v_sub_u16_e32 v5, v36, v0
	v_lshlrev_b32_e32 v0, 4, v5
	global_load_dwordx4 v[0:3], v0, s[4:5] offset:408
	v_mov_b32_e32 v4, v27
	v_lshl_add_u32 v10, v5, 3, 0
	v_add_u32_e32 v11, 0x2800, v10
	s_waitcnt vmcnt(0)
	v_pk_mul_f32 v[6:7], v[44:45], v[0:1] op_sel:[1,0]
	v_pk_mul_f32 v[4:5], v[4:5], v[2:3] op_sel_hi:[0,1]
	v_pk_fma_f32 v[8:9], v[44:45], v[0:1], v[6:7] op_sel:[0,0,1] op_sel_hi:[1,1,0] neg_lo:[0,0,1] neg_hi:[0,0,1]
	v_pk_fma_f32 v[0:1], v[44:45], v[0:1], v[6:7] op_sel:[0,0,1] op_sel_hi:[0,1,0]
	v_pk_fma_f32 v[6:7], v[26:27], v[2:3], v[4:5] op_sel:[0,0,1] op_sel_hi:[1,1,0] neg_lo:[0,0,1] neg_hi:[0,0,1]
	v_pk_fma_f32 v[2:3], v[26:27], v[2:3], v[4:5] op_sel:[0,0,1] op_sel_hi:[0,1,0]
	v_mov_b32_e32 v9, v1
	v_mov_b32_e32 v7, v3
	v_pk_add_f32 v[2:3], v[8:9], v[6:7]
	v_pk_add_f32 v[4:5], v[8:9], v[6:7] neg_lo:[0,1] neg_hi:[0,1]
	v_pk_add_f32 v[0:1], v[24:25], v[8:9]
	v_pk_fma_f32 v[2:3], -0.5, v[2:3], v[24:25] op_sel_hi:[0,1,1]
	v_pk_mul_f32 v[4:5], v[4:5], s[2:3] op_sel_hi:[1,0]
	v_pk_add_f32 v[0:1], v[0:1], v[6:7]
	v_pk_add_f32 v[6:7], v[2:3], v[4:5] op_sel:[0,1] op_sel_hi:[1,0]
	v_pk_add_f32 v[2:3], v[2:3], v[4:5] op_sel:[0,1] op_sel_hi:[1,0] neg_lo:[0,1] neg_hi:[0,1]
	v_mov_b32_e32 v4, v6
	v_mov_b32_e32 v5, v3
	;; [unrolled: 1-line block ×3, first 2 shown]
	ds_write2_b64 v11, v[0:1], v[4:5] offset0:148 offset1:216
	ds_write_b64 v10, v[2:3] offset:12512
.LBB0_23:
	s_or_b64 exec, exec, s[6:7]
	v_mul_u32_u24_e32 v0, 7, v32
	v_lshlrev_b32_e32 v28, 3, v0
	s_movk_i32 s6, 0x1000
	v_lshl_add_u64 v[16:17], s[4:5], 0, v[28:29]
	s_waitcnt lgkmcnt(0)
	s_barrier
	global_load_dwordx4 v[0:3], v28, s[4:5] offset:1496
	global_load_dwordx4 v[4:7], v28, s[4:5] offset:1512
	;; [unrolled: 1-line block ×3, first 2 shown]
	global_load_dwordx2 v[52:53], v28, s[4:5] offset:1544
	v_add_co_u32_e32 v12, vcc, s6, v16
	s_mov_b64 s[2:3], 0x1c28
	s_nop 0
	v_addc_co_u32_e32 v13, vcc, 0, v17, vcc
	global_load_dwordx4 v[12:15], v[12:13], off offset:3112
	v_lshl_add_u64 v[28:29], v[16:17], 0, s[2:3]
	global_load_dwordx4 v[16:19], v[28:29], off offset:16
	global_load_dwordx4 v[20:23], v[28:29], off offset:32
	ds_read_b64 v[54:55], v37
	ds_read_b64 v[56:57], v39
	global_load_dwordx2 v[58:59], v[28:29], off offset:48
	v_add_u32_e32 v30, 0x1400, v180
	v_add_u32_e32 v40, 0x2000, v180
	ds_read2_b64 v[24:27], v180 offset1:102
	v_add_u32_e32 v75, 0x1800, v180
	v_add_u32_e32 v80, 0x2800, v180
	;; [unrolled: 1-line block ×3, first 2 shown]
	ds_read_b64 v[60:61], v33
	ds_read_b64 v[62:63], v180 offset:12240
	ds_read2_b64 v[28:31], v30 offset0:74 offset1:176
	ds_read2_b64 v[36:39], v75 offset0:150 offset1:252
	;; [unrolled: 1-line block ×5, first 2 shown]
	s_waitcnt lgkmcnt(0)
	s_barrier
	s_mov_b32 s2, 0x3f3504f3
	s_waitcnt vmcnt(7)
	v_pk_mul_f32 v[64:65], v[0:1], v[60:61] op_sel:[0,1]
	v_pk_mul_f32 v[66:67], v[2:3], v[54:55] op_sel:[0,1]
	s_waitcnt vmcnt(6)
	v_pk_mul_f32 v[68:69], v[4:5], v[56:57] op_sel:[0,1]
	v_pk_mul_f32 v[70:71], v[6:7], v[30:31] op_sel:[0,1]
	s_waitcnt vmcnt(5)
	v_pk_mul_f32 v[72:73], v[38:39], v[8:9] op_sel:[0,1]
	v_mov_b32_e32 v74, v11
	s_waitcnt vmcnt(4)
	v_pk_mul_f32 v[76:77], v[46:47], v[52:53] op_sel:[0,1]
	v_pk_fma_f32 v[78:79], v[0:1], v[60:61], v[64:65] op_sel:[0,0,1] op_sel_hi:[1,1,0] neg_lo:[0,0,1] neg_hi:[0,0,1]
	v_pk_fma_f32 v[0:1], v[0:1], v[60:61], v[64:65] op_sel:[0,0,1] op_sel_hi:[1,0,0]
	v_pk_fma_f32 v[60:61], v[2:3], v[54:55], v[66:67] op_sel:[0,0,1] op_sel_hi:[1,1,0] neg_lo:[0,0,1] neg_hi:[0,0,1]
	v_pk_fma_f32 v[2:3], v[2:3], v[54:55], v[66:67] op_sel:[0,0,1] op_sel_hi:[1,0,0]
	;; [unrolled: 2-line block ×5, first 2 shown]
	v_pk_mul_f32 v[38:39], v[42:43], v[74:75] op_sel_hi:[1,0]
	v_pk_fma_f32 v[64:65], v[46:47], v[52:53], v[76:77] op_sel:[0,0,1] op_sel_hi:[1,1,0] neg_lo:[0,0,1] neg_hi:[0,0,1]
	v_pk_fma_f32 v[46:47], v[46:47], v[52:53], v[76:77] op_sel:[0,0,1] op_sel_hi:[1,0,0]
	v_mov_b32_e32 v79, v1
	v_mov_b32_e32 v61, v3
	;; [unrolled: 1-line block ×5, first 2 shown]
	v_pk_fma_f32 v[0:1], v[42:43], v[10:11], v[38:39] op_sel:[0,0,1] op_sel_hi:[1,1,0] neg_lo:[0,0,1] neg_hi:[0,0,1]
	v_pk_fma_f32 v[2:3], v[42:43], v[10:11], v[38:39] op_sel:[0,0,1] op_sel_hi:[1,0,0]
	v_mov_b32_e32 v65, v47
	s_waitcnt vmcnt(3)
	v_pk_mul_f32 v[4:5], v[48:49], v[12:13] op_sel:[0,1]
	s_waitcnt vmcnt(2)
	v_pk_mul_f32 v[6:7], v[28:29], v[16:17] op_sel:[0,1]
	v_mov_b32_e32 v2, v15
	v_mov_b32_e32 v1, v3
	v_pk_add_f32 v[8:9], v[24:25], v[56:57] neg_lo:[0,1] neg_hi:[0,1]
	v_pk_add_f32 v[10:11], v[78:79], v[30:31] neg_lo:[0,1] neg_hi:[0,1]
	;; [unrolled: 1-line block ×3, first 2 shown]
	v_pk_fma_f32 v[38:39], v[48:49], v[12:13], v[4:5] op_sel:[0,0,1] op_sel_hi:[1,1,0] neg_lo:[0,0,1] neg_hi:[0,0,1]
	v_pk_fma_f32 v[4:5], v[48:49], v[12:13], v[4:5] op_sel:[0,0,1] op_sel_hi:[1,0,0]
	v_pk_fma_f32 v[12:13], v[28:29], v[16:17], v[6:7] op_sel:[0,0,1] op_sel_hi:[1,1,0] neg_lo:[0,0,1] neg_hi:[0,0,1]
	v_pk_fma_f32 v[6:7], v[28:29], v[16:17], v[6:7] op_sel:[0,0,1] op_sel_hi:[1,0,0]
	v_pk_mul_f32 v[2:3], v[50:51], v[2:3] op_sel_hi:[1,0]
	v_pk_fma_f32 v[16:17], v[24:25], 2.0, v[8:9] op_sel_hi:[1,0,1] neg_lo:[0,0,1] neg_hi:[0,0,1]
	v_pk_add_f32 v[0:1], v[60:61], v[0:1] neg_lo:[0,1] neg_hi:[0,1]
	v_pk_fma_f32 v[24:25], v[78:79], 2.0, v[10:11] op_sel_hi:[1,0,1] neg_lo:[0,0,1] neg_hi:[0,0,1]
	v_pk_fma_f32 v[28:29], v[54:55], 2.0, v[30:31] op_sel_hi:[1,0,1] neg_lo:[0,0,1] neg_hi:[0,0,1]
	v_mov_b32_e32 v6, v19
	v_mov_b32_e32 v39, v5
	v_pk_fma_f32 v[4:5], v[50:51], v[14:15], v[2:3] op_sel:[0,0,1] op_sel_hi:[1,1,0] neg_lo:[0,0,1] neg_hi:[0,0,1]
	v_pk_fma_f32 v[2:3], v[50:51], v[14:15], v[2:3] op_sel:[0,0,1] op_sel_hi:[1,0,0]
	v_pk_fma_f32 v[14:15], v[60:61], 2.0, v[0:1] op_sel_hi:[1,0,1] neg_lo:[0,0,1] neg_hi:[0,0,1]
	v_pk_add_f32 v[28:29], v[24:25], v[28:29] neg_lo:[0,1] neg_hi:[0,1]
	v_mov_b32_e32 v13, v7
	v_pk_mul_f32 v[6:7], v[36:37], v[6:7] op_sel_hi:[1,0]
	v_mov_b32_e32 v5, v3
	v_pk_add_f32 v[2:3], v[16:17], v[14:15] neg_lo:[0,1] neg_hi:[0,1]
	v_pk_fma_f32 v[14:15], v[24:25], 2.0, v[28:29] op_sel_hi:[1,0,1] neg_lo:[0,0,1] neg_hi:[0,0,1]
	v_pk_fma_f32 v[24:25], v[36:37], v[18:19], v[6:7] op_sel:[0,0,1] op_sel_hi:[1,1,0] neg_lo:[0,0,1] neg_hi:[0,0,1]
	v_pk_fma_f32 v[6:7], v[36:37], v[18:19], v[6:7] op_sel:[0,0,1] op_sel_hi:[1,0,0]
	v_pk_fma_f32 v[16:17], v[16:17], 2.0, v[2:3] op_sel_hi:[1,0,1] neg_lo:[0,0,1] neg_hi:[0,0,1]
	v_mov_b32_e32 v25, v7
	s_waitcnt vmcnt(1)
	v_pk_mul_f32 v[6:7], v[40:41], v[20:21] op_sel:[0,1]
	v_pk_add_f32 v[14:15], v[16:17], v[14:15] neg_lo:[0,1] neg_hi:[0,1]
	v_pk_fma_f32 v[18:19], v[40:41], v[20:21], v[6:7] op_sel:[0,0,1] op_sel_hi:[1,1,0] neg_lo:[0,0,1] neg_hi:[0,0,1]
	v_pk_fma_f32 v[6:7], v[40:41], v[20:21], v[6:7] op_sel:[0,0,1] op_sel_hi:[1,0,0]
	v_pk_fma_f32 v[16:17], v[16:17], 2.0, v[14:15] op_sel_hi:[1,0,1] neg_lo:[0,0,1] neg_hi:[0,0,1]
	v_mov_b32_e32 v6, v23
	v_mov_b32_e32 v19, v7
	v_pk_mul_f32 v[6:7], v[44:45], v[6:7] op_sel_hi:[1,0]
	v_pk_add_f32 v[18:19], v[38:39], v[18:19] neg_lo:[0,1] neg_hi:[0,1]
	v_pk_fma_f32 v[20:21], v[44:45], v[22:23], v[6:7] op_sel:[0,0,1] op_sel_hi:[1,1,0] neg_lo:[0,0,1] neg_hi:[0,0,1]
	v_pk_fma_f32 v[6:7], v[44:45], v[22:23], v[6:7] op_sel:[0,0,1] op_sel_hi:[1,0,0]
	v_pk_add_f32 v[36:37], v[8:9], v[0:1] op_sel:[0,1] op_sel_hi:[1,0] neg_lo:[0,1] neg_hi:[0,1]
	v_mov_b32_e32 v21, v7
	s_waitcnt vmcnt(0)
	v_pk_mul_f32 v[6:7], v[62:63], v[58:59] op_sel:[0,1]
	v_pk_add_f32 v[20:21], v[4:5], v[20:21] neg_lo:[0,1] neg_hi:[0,1]
	v_pk_fma_f32 v[22:23], v[62:63], v[58:59], v[6:7] op_sel:[0,0,1] op_sel_hi:[1,1,0] neg_lo:[0,0,1] neg_hi:[0,0,1]
	v_pk_fma_f32 v[6:7], v[62:63], v[58:59], v[6:7] op_sel:[0,0,1] op_sel_hi:[1,0,0]
	v_pk_fma_f32 v[4:5], v[4:5], 2.0, v[20:21] op_sel_hi:[1,0,1] neg_lo:[0,0,1] neg_hi:[0,0,1]
	v_mov_b32_e32 v23, v7
	v_pk_add_f32 v[6:7], v[26:27], v[24:25] neg_lo:[0,1] neg_hi:[0,1]
	v_pk_add_f32 v[22:23], v[12:13], v[22:23] neg_lo:[0,1] neg_hi:[0,1]
	v_pk_fma_f32 v[24:25], v[26:27], 2.0, v[6:7] op_sel_hi:[1,0,1] neg_lo:[0,0,1] neg_hi:[0,0,1]
	v_pk_fma_f32 v[26:27], v[38:39], 2.0, v[18:19] op_sel_hi:[1,0,1] neg_lo:[0,0,1] neg_hi:[0,0,1]
	;; [unrolled: 1-line block ×3, first 2 shown]
	v_pk_add_f32 v[4:5], v[24:25], v[4:5] neg_lo:[0,1] neg_hi:[0,1]
	v_pk_add_f32 v[12:13], v[26:27], v[12:13] neg_lo:[0,1] neg_hi:[0,1]
	v_pk_fma_f32 v[24:25], v[24:25], 2.0, v[4:5] op_sel_hi:[1,0,1] neg_lo:[0,0,1] neg_hi:[0,0,1]
	v_pk_fma_f32 v[26:27], v[26:27], 2.0, v[12:13] op_sel_hi:[1,0,1] neg_lo:[0,0,1] neg_hi:[0,0,1]
	v_pk_add_f32 v[0:1], v[8:9], v[0:1] op_sel:[0,1] op_sel_hi:[1,0]
	v_pk_add_f32 v[26:27], v[24:25], v[26:27] neg_lo:[0,1] neg_hi:[0,1]
	v_mov_b32_e32 v37, v1
	v_pk_fma_f32 v[24:25], v[24:25], 2.0, v[26:27] op_sel_hi:[1,0,1] neg_lo:[0,0,1] neg_hi:[0,0,1]
	ds_write2_b64 v180, v[16:17], v[24:25] offset1:102
	v_pk_add_f32 v[16:17], v[6:7], v[20:21] op_sel:[0,1] op_sel_hi:[1,0] neg_lo:[0,1] neg_hi:[0,1]
	v_pk_add_f32 v[20:21], v[6:7], v[20:21] op_sel:[0,1] op_sel_hi:[1,0]
	v_pk_fma_f32 v[0:1], v[8:9], 2.0, v[36:37] op_sel_hi:[1,0,1] neg_lo:[0,0,1] neg_hi:[0,0,1]
	v_pk_add_f32 v[8:9], v[10:11], v[30:31] op_sel:[0,1] op_sel_hi:[1,0] neg_lo:[0,1] neg_hi:[0,1]
	v_pk_add_f32 v[30:31], v[10:11], v[30:31] op_sel:[0,1] op_sel_hi:[1,0]
	v_mov_b32_e32 v17, v21
	v_pk_add_f32 v[20:21], v[18:19], v[22:23] op_sel:[0,1] op_sel_hi:[1,0] neg_lo:[0,1] neg_hi:[0,1]
	v_pk_add_f32 v[22:23], v[18:19], v[22:23] op_sel:[0,1] op_sel_hi:[1,0]
	v_mov_b32_e32 v9, v31
	v_mov_b32_e32 v21, v23
	v_pk_fma_f32 v[10:11], v[10:11], 2.0, v[8:9] op_sel_hi:[1,0,1] neg_lo:[0,0,1] neg_hi:[0,0,1]
	v_pk_fma_f32 v[6:7], v[6:7], 2.0, v[16:17] op_sel_hi:[1,0,1] neg_lo:[0,0,1] neg_hi:[0,0,1]
	;; [unrolled: 1-line block ×3, first 2 shown]
	v_pk_mul_f32 v[30:31], v[10:11], s[2:3] op_sel_hi:[1,0]
	v_pk_fma_f32 v[10:11], v[10:11], s[2:3], v[0:1] op_sel_hi:[1,0,1] neg_lo:[1,0,0] neg_hi:[1,0,0]
	v_pk_mul_f32 v[22:23], v[18:19], s[2:3] op_sel_hi:[1,0]
	v_pk_fma_f32 v[18:19], v[18:19], s[2:3], v[6:7] op_sel_hi:[1,0,1] neg_lo:[1,0,0] neg_hi:[1,0,0]
	v_pk_add_f32 v[38:39], v[10:11], v[30:31] op_sel:[0,1] op_sel_hi:[1,0] neg_lo:[0,1] neg_hi:[0,1]
	v_pk_add_f32 v[10:11], v[10:11], v[30:31] op_sel:[0,1] op_sel_hi:[1,0]
	v_pk_add_f32 v[24:25], v[18:19], v[22:23] op_sel:[0,1] op_sel_hi:[1,0] neg_lo:[0,1] neg_hi:[0,1]
	v_pk_add_f32 v[18:19], v[18:19], v[22:23] op_sel:[0,1] op_sel_hi:[1,0]
	v_mov_b32_e32 v39, v11
	v_mov_b32_e32 v25, v19
	v_pk_fma_f32 v[0:1], v[0:1], 2.0, v[38:39] op_sel_hi:[1,0,1] neg_lo:[0,0,1] neg_hi:[0,0,1]
	v_pk_fma_f32 v[6:7], v[6:7], 2.0, v[24:25] op_sel_hi:[1,0,1] neg_lo:[0,0,1] neg_hi:[0,0,1]
	v_add_u32_e32 v18, 0x400, v180
	v_pk_add_f32 v[10:11], v[2:3], v[28:29] op_sel:[0,1] op_sel_hi:[1,0] neg_lo:[0,1] neg_hi:[0,1]
	v_pk_add_f32 v[28:29], v[2:3], v[28:29] op_sel:[0,1] op_sel_hi:[1,0]
	ds_write2_b64 v18, v[0:1], v[6:7] offset0:76 offset1:178
	v_pk_add_f32 v[0:1], v[4:5], v[12:13] op_sel:[0,1] op_sel_hi:[1,0] neg_lo:[0,1] neg_hi:[0,1]
	v_pk_add_f32 v[6:7], v[4:5], v[12:13] op_sel:[0,1] op_sel_hi:[1,0]
	v_mov_b32_e32 v11, v29
	v_mov_b32_e32 v1, v7
	v_pk_fma_f32 v[2:3], v[2:3], 2.0, v[10:11] op_sel_hi:[1,0,1] neg_lo:[0,0,1] neg_hi:[0,0,1]
	v_pk_fma_f32 v[4:5], v[4:5], 2.0, v[0:1] op_sel_hi:[1,0,1] neg_lo:[0,0,1] neg_hi:[0,0,1]
	v_pk_mul_f32 v[28:29], v[8:9], s[2:3] op_sel_hi:[1,0]
	v_pk_fma_f32 v[8:9], v[8:9], s[2:3], v[36:37] op_sel_hi:[1,0,1]
	ds_write2_b64 v81, v[2:3], v[4:5] offset0:152 offset1:254
	v_pk_mul_f32 v[2:3], v[20:21], s[2:3] op_sel_hi:[1,0]
	v_pk_fma_f32 v[4:5], v[20:21], s[2:3], v[16:17] op_sel_hi:[1,0,1]
	v_pk_add_f32 v[30:31], v[8:9], v[28:29] op_sel:[0,1] op_sel_hi:[1,0] neg_lo:[0,1] neg_hi:[0,1]
	v_pk_add_f32 v[8:9], v[8:9], v[28:29] op_sel:[0,1] op_sel_hi:[1,0]
	v_pk_add_f32 v[6:7], v[4:5], v[2:3] op_sel:[0,1] op_sel_hi:[1,0] neg_lo:[0,1] neg_hi:[0,1]
	v_pk_add_f32 v[2:3], v[4:5], v[2:3] op_sel:[0,1] op_sel_hi:[1,0]
	v_mov_b32_e32 v31, v9
	v_mov_b32_e32 v7, v3
	v_pk_fma_f32 v[8:9], v[36:37], 2.0, v[30:31] op_sel_hi:[1,0,1] neg_lo:[0,0,1] neg_hi:[0,0,1]
	v_pk_fma_f32 v[2:3], v[16:17], 2.0, v[6:7] op_sel_hi:[1,0,1] neg_lo:[0,0,1] neg_hi:[0,0,1]
	v_add_u32_e32 v4, 0x1000, v180
	ds_write2_b64 v4, v[8:9], v[2:3] offset0:100 offset1:202
	ds_write2_b64 v75, v[14:15], v[26:27] offset0:48 offset1:150
	v_add_u32_e32 v2, 0x1c00, v180
	ds_write2_b64 v2, v[38:39], v[24:25] offset0:124 offset1:226
	v_add_u32_e32 v2, 0x2400, v180
	ds_write2_b64 v2, v[10:11], v[0:1] offset0:72 offset1:174
	ds_write2_b64 v80, v[30:31], v[6:7] offset0:148 offset1:250
	s_waitcnt lgkmcnt(0)
	s_barrier
	s_and_saveexec_b64 s[2:3], s[0:1]
	s_cbranch_execz .LBB0_25
; %bb.24:
	v_lshl_add_u32 v8, v32, 3, 0
	ds_read2_b64 v[0:3], v8 offset1:102
	v_mov_b32_e32 v33, 0
	v_add_u32_e32 v4, 0x66, v32
	v_lshl_add_u64 v[6:7], v[32:33], 3, v[34:35]
	v_mov_b32_e32 v5, v33
	s_waitcnt lgkmcnt(0)
	global_store_dwordx2 v[6:7], v[0:1], off
	v_lshl_add_u64 v[0:1], v[4:5], 3, v[34:35]
	v_add_u32_e32 v4, 0x400, v8
	ds_read2_b64 v[4:7], v4 offset0:76 offset1:178
	global_store_dwordx2 v[0:1], v[2:3], off
	v_add_u32_e32 v0, 0xcc, v32
	v_mov_b32_e32 v1, v33
	v_lshl_add_u64 v[0:1], v[0:1], 3, v[34:35]
	s_waitcnt lgkmcnt(0)
	global_store_dwordx2 v[0:1], v[4:5], off
	v_add_u32_e32 v0, 0x132, v32
	v_mov_b32_e32 v1, v33
	v_lshl_add_u64 v[4:5], v[0:1], 3, v[34:35]
	v_add_u32_e32 v0, 0x800, v8
	ds_read2_b64 v[0:3], v0 offset0:152 offset1:254
	global_store_dwordx2 v[4:5], v[6:7], off
	v_add_u32_e32 v4, 0x198, v32
	v_mov_b32_e32 v5, v33
	v_lshl_add_u64 v[4:5], v[4:5], 3, v[34:35]
	s_waitcnt lgkmcnt(0)
	global_store_dwordx2 v[4:5], v[0:1], off
	v_add_u32_e32 v4, 0x1000, v8
	ds_read2_b64 v[4:7], v4 offset0:100 offset1:202
	v_add_u32_e32 v0, 0x1fe, v32
	v_mov_b32_e32 v1, v33
	v_lshl_add_u64 v[0:1], v[0:1], 3, v[34:35]
	global_store_dwordx2 v[0:1], v[2:3], off
	v_add_u32_e32 v0, 0x264, v32
	v_mov_b32_e32 v1, v33
	v_lshl_add_u64 v[0:1], v[0:1], 3, v[34:35]
	s_waitcnt lgkmcnt(0)
	global_store_dwordx2 v[0:1], v[4:5], off
	v_add_u32_e32 v0, 0x2ca, v32
	v_mov_b32_e32 v1, v33
	v_lshl_add_u64 v[4:5], v[0:1], 3, v[34:35]
	v_add_u32_e32 v0, 0x1800, v8
	ds_read2_b64 v[0:3], v0 offset0:48 offset1:150
	global_store_dwordx2 v[4:5], v[6:7], off
	v_add_u32_e32 v4, 0x330, v32
	v_mov_b32_e32 v5, v33
	v_lshl_add_u64 v[4:5], v[4:5], 3, v[34:35]
	s_waitcnt lgkmcnt(0)
	global_store_dwordx2 v[4:5], v[0:1], off
	v_add_u32_e32 v4, 0x1c00, v8
	ds_read2_b64 v[4:7], v4 offset0:124 offset1:226
	v_add_u32_e32 v0, 0x396, v32
	v_mov_b32_e32 v1, v33
	v_lshl_add_u64 v[0:1], v[0:1], 3, v[34:35]
	;; [unrolled: 22-line block ×3, first 2 shown]
	global_store_dwordx2 v[0:1], v[2:3], off
	v_add_u32_e32 v0, 0x594, v32
	v_mov_b32_e32 v1, v33
	v_lshl_add_u64 v[0:1], v[0:1], 3, v[34:35]
	v_add_u32_e32 v32, 0x5fa, v32
	s_waitcnt lgkmcnt(0)
	global_store_dwordx2 v[0:1], v[4:5], off
	v_lshl_add_u64 v[0:1], v[32:33], 3, v[34:35]
	global_store_dwordx2 v[0:1], v[6:7], off
.LBB0_25:
	s_endpgm
	.section	.rodata,"a",@progbits
	.p2align	6, 0x0
	.amdhsa_kernel fft_rtc_fwd_len1632_factors_17_2_2_3_8_wgs_102_tpt_102_halfLds_sp_ip_CI_unitstride_sbrr_C2R_dirReg
		.amdhsa_group_segment_fixed_size 0
		.amdhsa_private_segment_fixed_size 0
		.amdhsa_kernarg_size 88
		.amdhsa_user_sgpr_count 2
		.amdhsa_user_sgpr_dispatch_ptr 0
		.amdhsa_user_sgpr_queue_ptr 0
		.amdhsa_user_sgpr_kernarg_segment_ptr 1
		.amdhsa_user_sgpr_dispatch_id 0
		.amdhsa_user_sgpr_kernarg_preload_length 0
		.amdhsa_user_sgpr_kernarg_preload_offset 0
		.amdhsa_user_sgpr_private_segment_size 0
		.amdhsa_uses_dynamic_stack 0
		.amdhsa_enable_private_segment 0
		.amdhsa_system_sgpr_workgroup_id_x 1
		.amdhsa_system_sgpr_workgroup_id_y 0
		.amdhsa_system_sgpr_workgroup_id_z 0
		.amdhsa_system_sgpr_workgroup_info 0
		.amdhsa_system_vgpr_workitem_id 0
		.amdhsa_next_free_vgpr 256
		.amdhsa_next_free_sgpr 52
		.amdhsa_accum_offset 256
		.amdhsa_reserve_vcc 1
		.amdhsa_float_round_mode_32 0
		.amdhsa_float_round_mode_16_64 0
		.amdhsa_float_denorm_mode_32 3
		.amdhsa_float_denorm_mode_16_64 3
		.amdhsa_dx10_clamp 1
		.amdhsa_ieee_mode 1
		.amdhsa_fp16_overflow 0
		.amdhsa_tg_split 0
		.amdhsa_exception_fp_ieee_invalid_op 0
		.amdhsa_exception_fp_denorm_src 0
		.amdhsa_exception_fp_ieee_div_zero 0
		.amdhsa_exception_fp_ieee_overflow 0
		.amdhsa_exception_fp_ieee_underflow 0
		.amdhsa_exception_fp_ieee_inexact 0
		.amdhsa_exception_int_div_zero 0
	.end_amdhsa_kernel
	.text
.Lfunc_end0:
	.size	fft_rtc_fwd_len1632_factors_17_2_2_3_8_wgs_102_tpt_102_halfLds_sp_ip_CI_unitstride_sbrr_C2R_dirReg, .Lfunc_end0-fft_rtc_fwd_len1632_factors_17_2_2_3_8_wgs_102_tpt_102_halfLds_sp_ip_CI_unitstride_sbrr_C2R_dirReg
                                        ; -- End function
	.section	.AMDGPU.csdata,"",@progbits
; Kernel info:
; codeLenInByte = 12608
; NumSgprs: 58
; NumVgprs: 256
; NumAgprs: 0
; TotalNumVgprs: 256
; ScratchSize: 0
; MemoryBound: 0
; FloatMode: 240
; IeeeMode: 1
; LDSByteSize: 0 bytes/workgroup (compile time only)
; SGPRBlocks: 7
; VGPRBlocks: 31
; NumSGPRsForWavesPerEU: 58
; NumVGPRsForWavesPerEU: 256
; AccumOffset: 256
; Occupancy: 2
; WaveLimiterHint : 1
; COMPUTE_PGM_RSRC2:SCRATCH_EN: 0
; COMPUTE_PGM_RSRC2:USER_SGPR: 2
; COMPUTE_PGM_RSRC2:TRAP_HANDLER: 0
; COMPUTE_PGM_RSRC2:TGID_X_EN: 1
; COMPUTE_PGM_RSRC2:TGID_Y_EN: 0
; COMPUTE_PGM_RSRC2:TGID_Z_EN: 0
; COMPUTE_PGM_RSRC2:TIDIG_COMP_CNT: 0
; COMPUTE_PGM_RSRC3_GFX90A:ACCUM_OFFSET: 63
; COMPUTE_PGM_RSRC3_GFX90A:TG_SPLIT: 0
	.text
	.p2alignl 6, 3212836864
	.fill 256, 4, 3212836864
	.type	__hip_cuid_7066983885f349ea,@object ; @__hip_cuid_7066983885f349ea
	.section	.bss,"aw",@nobits
	.globl	__hip_cuid_7066983885f349ea
__hip_cuid_7066983885f349ea:
	.byte	0                               ; 0x0
	.size	__hip_cuid_7066983885f349ea, 1

	.ident	"AMD clang version 19.0.0git (https://github.com/RadeonOpenCompute/llvm-project roc-6.4.0 25133 c7fe45cf4b819c5991fe208aaa96edf142730f1d)"
	.section	".note.GNU-stack","",@progbits
	.addrsig
	.addrsig_sym __hip_cuid_7066983885f349ea
	.amdgpu_metadata
---
amdhsa.kernels:
  - .agpr_count:     0
    .args:
      - .actual_access:  read_only
        .address_space:  global
        .offset:         0
        .size:           8
        .value_kind:     global_buffer
      - .offset:         8
        .size:           8
        .value_kind:     by_value
      - .actual_access:  read_only
        .address_space:  global
        .offset:         16
        .size:           8
        .value_kind:     global_buffer
      - .actual_access:  read_only
        .address_space:  global
        .offset:         24
        .size:           8
        .value_kind:     global_buffer
      - .offset:         32
        .size:           8
        .value_kind:     by_value
      - .actual_access:  read_only
        .address_space:  global
        .offset:         40
        .size:           8
        .value_kind:     global_buffer
      - .actual_access:  read_only
        .address_space:  global
        .offset:         48
        .size:           8
        .value_kind:     global_buffer
      - .offset:         56
        .size:           4
        .value_kind:     by_value
      - .actual_access:  read_only
        .address_space:  global
        .offset:         64
        .size:           8
        .value_kind:     global_buffer
      - .actual_access:  read_only
        .address_space:  global
        .offset:         72
        .size:           8
        .value_kind:     global_buffer
      - .address_space:  global
        .offset:         80
        .size:           8
        .value_kind:     global_buffer
    .group_segment_fixed_size: 0
    .kernarg_segment_align: 8
    .kernarg_segment_size: 88
    .language:       OpenCL C
    .language_version:
      - 2
      - 0
    .max_flat_workgroup_size: 102
    .name:           fft_rtc_fwd_len1632_factors_17_2_2_3_8_wgs_102_tpt_102_halfLds_sp_ip_CI_unitstride_sbrr_C2R_dirReg
    .private_segment_fixed_size: 0
    .sgpr_count:     58
    .sgpr_spill_count: 0
    .symbol:         fft_rtc_fwd_len1632_factors_17_2_2_3_8_wgs_102_tpt_102_halfLds_sp_ip_CI_unitstride_sbrr_C2R_dirReg.kd
    .uniform_work_group_size: 1
    .uses_dynamic_stack: false
    .vgpr_count:     256
    .vgpr_spill_count: 0
    .wavefront_size: 64
amdhsa.target:   amdgcn-amd-amdhsa--gfx950
amdhsa.version:
  - 1
  - 2
...

	.end_amdgpu_metadata
